;; amdgpu-corpus repo=zjin-lcf/HeCBench kind=compiled arch=gfx1250 opt=O3
	.amdgcn_target "amdgcn-amd-amdhsa--gfx1250"
	.amdhsa_code_object_version 6
	.text
	.protected	_Z15updatePressuresP14fluid_particlePK5param ; -- Begin function _Z15updatePressuresP14fluid_particlePK5param
	.globl	_Z15updatePressuresP14fluid_particlePK5param
	.p2align	8
	.type	_Z15updatePressuresP14fluid_particlePK5param,@function
_Z15updatePressuresP14fluid_particlePK5param: ; @_Z15updatePressuresP14fluid_particlePK5param
; %bb.0:
	s_clause 0x1
	s_load_b64 s[12:13], s[0:1], 0x8
	s_load_b32 s2, s[0:1], 0x1c
	s_bfe_u32 s3, ttmp6, 0x4000c
	s_and_b32 s4, ttmp6, 15
	s_add_co_i32 s3, s3, 1
	s_getreg_b32 s5, hwreg(HW_REG_IB_STS2, 6, 4)
	s_mul_i32 s3, ttmp9, s3
	s_delay_alu instid0(SALU_CYCLE_1)
	s_add_co_i32 s4, s4, s3
	s_wait_kmcnt 0x0
	s_load_b32 s28, s[12:13], 0x4c
	s_and_b32 s2, s2, 0xffff
	s_cmp_eq_u32 s5, 0
	s_cselect_b32 s3, ttmp9, s4
	s_delay_alu instid0(SALU_CYCLE_1) | instskip(SKIP_2) | instid1(VALU_DEP_1)
	v_mad_u32 v0, s3, s2, v0
	s_mov_b32 s2, exec_lo
	s_wait_kmcnt 0x0
	v_cmpx_gt_i32_e64 s28, v0
	s_cbranch_execz .LBB0_13
; %bb.1:
	s_load_b64 s[2:3], s[0:1], 0x0
	s_cmp_lt_i32 s28, 1
	s_wait_kmcnt 0x0
	v_mad_nc_i64_i32 v[14:15], 0x70, v0, s[2:3]
	global_load_b64 v[0:1], v[14:15], off
	s_cbranch_scc1 .LBB0_12
; %bb.2:
	s_clause 0x1
	s_load_b64 s[14:15], s[12:13], 0x18
	s_load_b64 s[16:17], s[12:13], 0x28
	s_mov_b64 s[0:1], 0x400921fb54442d18
	s_mov_b64 s[20:21], 0x3fe5555555555555
	;; [unrolled: 1-line block ×4, first 2 shown]
	s_add_nc_u64 s[26:27], s[2:3], 32
	s_wait_kmcnt 0x0
	v_mul_f64_e64 v[2:3], s[14:15], s[0:1]
	v_mul_f64_e64 v[20:21], s[14:15], s[14:15]
	s_delay_alu instid0(VALU_DEP_2) | instskip(NEXT) | instid1(VALU_DEP_2)
	v_mul_f64_e32 v[2:3], s[14:15], v[2:3]
	v_div_scale_f64 v[22:23], null, v[20:21], v[20:21], -1.0
	s_delay_alu instid0(VALU_DEP_2)
	v_mul_f64_e32 v[16:17], s[14:15], v[2:3]
	s_clause 0x2
	global_load_b128 v[2:5], v[14:15], off offset:48
	global_load_b128 v[6:9], v[14:15], off offset:32
	global_load_b128 v[10:13], v[14:15], off offset:16
	v_rcp_f64_e32 v[26:27], v[22:23]
	s_load_b64 s[18:19], s[12:13], 0x8
	v_div_scale_f64 v[18:19], null, v[16:17], v[16:17], 1.0
	v_div_scale_f64 v[32:33], vcc_lo, 1.0, v[16:17], 1.0
	s_delay_alu instid0(TRANS32_DEP_1) | instskip(NEXT) | instid1(VALU_DEP_3)
	v_fma_f64 v[30:31], -v[22:23], v[26:27], 1.0
	v_rcp_f64_e32 v[24:25], v[18:19]
	s_delay_alu instid0(VALU_DEP_1) | instskip(NEXT) | instid1(TRANS32_DEP_1)
	v_fmac_f64_e32 v[26:27], v[26:27], v[30:31]
	v_fma_f64 v[28:29], -v[18:19], v[24:25], 1.0
	s_delay_alu instid0(VALU_DEP_2) | instskip(NEXT) | instid1(VALU_DEP_2)
	v_fma_f64 v[30:31], -v[22:23], v[26:27], 1.0
	v_fmac_f64_e32 v[24:25], v[24:25], v[28:29]
	s_delay_alu instid0(VALU_DEP_2) | instskip(NEXT) | instid1(VALU_DEP_2)
	v_fmac_f64_e32 v[26:27], v[26:27], v[30:31]
	v_fma_f64 v[28:29], -v[18:19], v[24:25], 1.0
	s_delay_alu instid0(VALU_DEP_1) | instskip(SKIP_1) | instid1(VALU_DEP_2)
	v_fmac_f64_e32 v[24:25], v[24:25], v[28:29]
	v_div_scale_f64 v[28:29], s0, -1.0, v[20:21], -1.0
	v_mul_f64_e32 v[30:31], v[32:33], v[24:25]
	s_delay_alu instid0(VALU_DEP_2) | instskip(NEXT) | instid1(VALU_DEP_2)
	v_mul_f64_e32 v[34:35], v[28:29], v[26:27]
	v_fma_f64 v[18:19], -v[18:19], v[30:31], v[32:33]
	s_delay_alu instid0(VALU_DEP_2) | instskip(NEXT) | instid1(VALU_DEP_2)
	v_fma_f64 v[22:23], -v[22:23], v[34:35], v[28:29]
                                        ; implicit-def: $vgpr28_vgpr29
                                        ; implicit-def: $vgpr28_vgpr29
	;; [unrolled: 1-line block ×15, first 2 shown]
	v_div_fmas_f64 v[18:19], v[18:19], v[24:25], v[30:31]
	s_mov_b32 vcc_lo, s0
	v_mov_b64_e32 v[24:25], 0x3e928af3fca7ab0c
	s_delay_alu instid0(VALU_DEP_3) | instskip(SKIP_1) | instid1(VALU_DEP_4)
	v_div_fmas_f64 v[22:23], v[22:23], v[26:27], v[34:35]
	v_mov_b32_e32 v26, 0
	v_div_fixup_f64 v[16:17], v[18:19], v[16:17], 1.0
	v_mul_f64_e64 v[18:19], s[14:15], 4.0
	s_delay_alu instid0(VALU_DEP_4)
	v_div_fixup_f64 v[20:21], v[22:23], v[20:21], -1.0
	v_mov_b64_e32 v[22:23], 0x3fba6564968915a9
	s_branch .LBB0_5
.LBB0_3:                                ;   in Loop: Header=BB0_5 Depth=1
	s_or_b32 exec_lo, exec_lo, s0
	s_delay_alu instid0(VALU_DEP_1)
	v_mul_f64_e32 v[38:39], v[16:17], v[38:39]
.LBB0_4:                                ;   in Loop: Header=BB0_5 Depth=1
	s_or_b32 exec_lo, exec_lo, s3
	v_add_f64_e64 v[34:35], v[2:3], -s[8:9]
	s_delay_alu instid0(VALU_DEP_2)
	v_mul_f64_e32 v[36:37], s[18:19], v[38:39]
	v_add_f64_e64 v[38:39], v[8:9], -s[6:7]
	v_add_f64_e64 v[40:41], v[4:5], -s[10:11]
	s_add_co_i32 s28, s28, -1
	s_add_nc_u64 s[26:27], s[26:27], 0x70
	s_cmp_eq_u32 s28, 0
	s_delay_alu instid0(VALU_DEP_3) | instskip(NEXT) | instid1(VALU_DEP_3)
	v_mul_f64_e32 v[34:35], v[34:35], v[36:37]
	v_mul_f64_e32 v[38:39], v[38:39], v[36:37]
	s_delay_alu instid0(VALU_DEP_2) | instskip(NEXT) | instid1(VALU_DEP_4)
	v_mul_f64_e32 v[30:31], v[30:31], v[34:35]
	v_mul_f64_e32 v[34:35], v[40:41], v[36:37]
	s_delay_alu instid0(VALU_DEP_2) | instskip(NEXT) | instid1(VALU_DEP_1)
	v_fmac_f64_e32 v[30:31], v[28:29], v[38:39]
	v_fmac_f64_e32 v[30:31], v[32:33], v[34:35]
	s_delay_alu instid0(VALU_DEP_1)
	v_fmac_f64_e32 v[0:1], s[16:17], v[30:31]
	s_cbranch_scc1 .LBB0_12
.LBB0_5:                                ; =>This Inner Loop Header: Depth=1
	s_add_nc_u64 s[8:9], s[26:27], -16
	s_load_b256 s[0:7], s[8:9], 0x0
	s_wait_xcnt 0x0
	s_load_b128 s[8:11], s[26:27], 0x10
	s_wait_loadcnt 0x0
	s_wait_kmcnt 0x0
	v_add_f64_e64 v[30:31], v[12:13], -s[2:3]
	v_add_f64_e64 v[28:29], v[10:11], -s[0:1]
	;; [unrolled: 1-line block ×3, first 2 shown]
	s_mov_b32 s3, exec_lo
	s_delay_alu instid0(VALU_DEP_3) | instskip(NEXT) | instid1(VALU_DEP_1)
	v_mul_f64_e32 v[34:35], v[30:31], v[30:31]
	v_fmac_f64_e32 v[34:35], v[28:29], v[28:29]
	s_delay_alu instid0(VALU_DEP_1) | instskip(NEXT) | instid1(VALU_DEP_1)
	v_fmac_f64_e32 v[34:35], v[32:33], v[32:33]
	v_cmp_gt_f64_e32 vcc_lo, 0x10000000, v[34:35]
	v_cndmask_b32_e64 v27, 0, 0x100, vcc_lo
	s_delay_alu instid0(VALU_DEP_1) | instskip(SKIP_1) | instid1(VALU_DEP_2)
	v_ldexp_f64 v[34:35], v[34:35], v27
	v_cndmask_b32_e64 v27, 0, 0xffffff80, vcc_lo
	v_rsq_f64_e32 v[36:37], v[34:35]
	v_cmp_class_f64_e64 vcc_lo, v[34:35], 0x260
	s_delay_alu instid0(TRANS32_DEP_1) | instskip(SKIP_1) | instid1(VALU_DEP_1)
	v_mul_f64_e32 v[38:39], v[34:35], v[36:37]
	v_mul_f64_e32 v[36:37], 0.5, v[36:37]
	v_fma_f64 v[40:41], -v[36:37], v[38:39], 0.5
	s_delay_alu instid0(VALU_DEP_1) | instskip(SKIP_1) | instid1(VALU_DEP_2)
	v_fmac_f64_e32 v[38:39], v[38:39], v[40:41]
	v_fmac_f64_e32 v[36:37], v[36:37], v[40:41]
	v_fma_f64 v[40:41], -v[38:39], v[38:39], v[34:35]
	s_delay_alu instid0(VALU_DEP_1) | instskip(NEXT) | instid1(VALU_DEP_1)
	v_fmac_f64_e32 v[38:39], v[40:41], v[36:37]
	v_fma_f64 v[40:41], -v[38:39], v[38:39], v[34:35]
	s_delay_alu instid0(VALU_DEP_1) | instskip(NEXT) | instid1(VALU_DEP_1)
	v_fmac_f64_e32 v[38:39], v[40:41], v[36:37]
	v_ldexp_f64 v[36:37], v[38:39], v27
	s_delay_alu instid0(VALU_DEP_1) | instskip(NEXT) | instid1(VALU_DEP_1)
	v_dual_cndmask_b32 v37, v37, v35 :: v_dual_cndmask_b32 v36, v36, v34
	v_div_scale_f64 v[34:35], null, s[14:15], s[14:15], v[36:37]
	s_delay_alu instid0(VALU_DEP_1) | instskip(SKIP_1) | instid1(TRANS32_DEP_1)
	v_rcp_f64_e32 v[38:39], v[34:35]
	v_nop
	v_fma_f64 v[40:41], -v[34:35], v[38:39], 1.0
	s_delay_alu instid0(VALU_DEP_1) | instskip(NEXT) | instid1(VALU_DEP_1)
	v_fmac_f64_e32 v[38:39], v[38:39], v[40:41]
	v_fma_f64 v[40:41], -v[34:35], v[38:39], 1.0
	s_delay_alu instid0(VALU_DEP_1) | instskip(SKIP_1) | instid1(VALU_DEP_1)
	v_fmac_f64_e32 v[38:39], v[38:39], v[40:41]
	v_div_scale_f64 v[40:41], vcc_lo, v[36:37], s[14:15], v[36:37]
	v_mul_f64_e32 v[42:43], v[40:41], v[38:39]
	s_delay_alu instid0(VALU_DEP_1) | instskip(NEXT) | instid1(VALU_DEP_1)
	v_fma_f64 v[34:35], -v[34:35], v[42:43], v[40:41]
	v_div_fmas_f64 v[34:35], v[34:35], v[38:39], v[42:43]
	v_mov_b64_e32 v[38:39], 0
	s_delay_alu instid0(VALU_DEP_2) | instskip(NEXT) | instid1(VALU_DEP_1)
	v_div_fixup_f64 v[34:35], v[34:35], s[14:15], v[36:37]
	v_cmpx_nle_f64_e32 2.0, v[34:35]
	s_cbranch_execz .LBB0_4
; %bb.6:                                ;   in Loop: Header=BB0_5 Depth=1
                                        ; implicit-def: $vgpr38_vgpr39
	s_mov_b32 s0, exec_lo
	v_cmpx_ngt_f64_e32 1.0, v[34:35]
	s_xor_b32 s4, exec_lo, s0
	s_cbranch_execz .LBB0_10
; %bb.7:                                ;   in Loop: Header=BB0_5 Depth=1
	v_cmp_le_f64_e32 vcc_lo, 1.0, v[34:35]
	v_cmp_gt_f64_e64 s0, 2.0, v[34:35]
	v_mov_b64_e32 v[38:39], 0
	s_and_b32 s0, vcc_lo, s0
	s_delay_alu instid0(SALU_CYCLE_1)
	s_and_saveexec_b32 s5, s0
	s_cbranch_execz .LBB0_9
; %bb.8:                                ;   in Loop: Header=BB0_5 Depth=1
	v_add_f64_e64 v[34:35], -v[34:35], 2.0
	v_mul_f64_e32 v[36:37], v[36:37], v[18:19]
	s_delay_alu instid0(VALU_DEP_2) | instskip(NEXT) | instid1(VALU_DEP_1)
	v_frexp_mant_f64_e64 v[38:39], |v[34:35]|
	v_cmp_gt_f64_e32 vcc_lo, s[20:21], v[38:39]
	v_cndmask_b32_e64 v27, 0, 1, vcc_lo
	s_delay_alu instid0(VALU_DEP_1) | instskip(SKIP_1) | instid1(VALU_DEP_2)
	v_ldexp_f64 v[38:39], v[38:39], v27
	v_frexp_exp_i32_f64_e32 v27, v[34:35]
	v_add_f64_e32 v[40:41], 1.0, v[38:39]
	v_add_f64_e32 v[46:47], -1.0, v[38:39]
	s_delay_alu instid0(VALU_DEP_3) | instskip(SKIP_1) | instid1(VALU_DEP_4)
	v_subrev_co_ci_u32_e64 v27, null, 0, v27, vcc_lo
	v_cmp_eq_f64_e32 vcc_lo, 1.0, v[34:35]
	v_rcp_f64_e32 v[42:43], v[40:41]
	v_add_f64_e32 v[48:49], -1.0, v[40:41]
	s_delay_alu instid0(VALU_DEP_1) | instskip(NEXT) | instid1(TRANS32_DEP_1)
	v_add_f64_e64 v[38:39], v[38:39], -v[48:49]
	v_fma_f64 v[44:45], -v[40:41], v[42:43], 1.0
	s_delay_alu instid0(VALU_DEP_1) | instskip(NEXT) | instid1(VALU_DEP_1)
	v_fmac_f64_e32 v[42:43], v[44:45], v[42:43]
	v_fma_f64 v[44:45], -v[40:41], v[42:43], 1.0
	s_delay_alu instid0(VALU_DEP_1) | instskip(NEXT) | instid1(VALU_DEP_1)
	v_fmac_f64_e32 v[42:43], v[44:45], v[42:43]
	v_mul_f64_e32 v[44:45], v[46:47], v[42:43]
	s_delay_alu instid0(VALU_DEP_1) | instskip(NEXT) | instid1(VALU_DEP_1)
	v_mul_f64_e32 v[50:51], v[40:41], v[44:45]
	v_fma_f64 v[40:41], v[44:45], v[40:41], -v[50:51]
	s_delay_alu instid0(VALU_DEP_1) | instskip(NEXT) | instid1(VALU_DEP_1)
	v_fmac_f64_e32 v[40:41], v[44:45], v[38:39]
	v_add_f64_e32 v[38:39], v[50:51], v[40:41]
	s_delay_alu instid0(VALU_DEP_1) | instskip(SKIP_1) | instid1(VALU_DEP_2)
	v_add_f64_e64 v[48:49], v[46:47], -v[38:39]
	v_add_f64_e64 v[50:51], v[38:39], -v[50:51]
	;; [unrolled: 1-line block ×3, first 2 shown]
	s_delay_alu instid0(VALU_DEP_2) | instskip(NEXT) | instid1(VALU_DEP_2)
	v_add_f64_e64 v[40:41], v[50:51], -v[40:41]
	v_add_f64_e64 v[38:39], v[46:47], -v[38:39]
	s_delay_alu instid0(VALU_DEP_1) | instskip(NEXT) | instid1(VALU_DEP_1)
	v_add_f64_e32 v[38:39], v[40:41], v[38:39]
	v_add_f64_e32 v[38:39], v[48:49], v[38:39]
	s_delay_alu instid0(VALU_DEP_1) | instskip(NEXT) | instid1(VALU_DEP_1)
	v_mul_f64_e32 v[38:39], v[42:43], v[38:39]
	v_add_f64_e32 v[40:41], v[44:45], v[38:39]
	s_delay_alu instid0(VALU_DEP_1) | instskip(SKIP_1) | instid1(VALU_DEP_2)
	v_add_f64_e64 v[42:43], v[40:41], -v[44:45]
	v_mul_f64_e32 v[44:45], v[40:41], v[40:41]
	v_add_f64_e64 v[38:39], v[38:39], -v[42:43]
	s_delay_alu instid0(VALU_DEP_2) | instskip(NEXT) | instid1(VALU_DEP_2)
	v_fma_f64 v[42:43], v[40:41], v[40:41], -v[44:45]
	v_add_f64_e32 v[46:47], v[38:39], v[38:39]
	s_delay_alu instid0(VALU_DEP_1) | instskip(NEXT) | instid1(VALU_DEP_1)
	v_fmac_f64_e32 v[42:43], v[40:41], v[46:47]
	v_add_f64_e32 v[46:47], v[44:45], v[42:43]
	s_delay_alu instid0(VALU_DEP_1) | instskip(SKIP_2) | instid1(VALU_DEP_3)
	v_fmamk_f64 v[48:49], v[46:47], 0x3fbdee674222de17, v[22:23]
	v_add_f64_e64 v[44:45], v[46:47], -v[44:45]
	v_mul_f64_e32 v[54:55], v[40:41], v[46:47]
	v_fmaak_f64 v[48:49], v[46:47], v[48:49], 0x3fbe25e43abe935a
	s_delay_alu instid0(VALU_DEP_1) | instskip(NEXT) | instid1(VALU_DEP_1)
	v_fmaak_f64 v[48:49], v[46:47], v[48:49], 0x3fc110ef47e6c9c2
	v_fmaak_f64 v[48:49], v[46:47], v[48:49], 0x3fc3b13bcfa74449
	s_delay_alu instid0(VALU_DEP_1) | instskip(SKIP_1) | instid1(VALU_DEP_2)
	v_fmaak_f64 v[48:49], v[46:47], v[48:49], 0x3fc745d171bf3c30
	v_add_f64_e64 v[42:43], v[42:43], -v[44:45]
	v_fmaak_f64 v[48:49], v[46:47], v[48:49], 0x3fcc71c71c7792ce
	s_delay_alu instid0(VALU_DEP_1) | instskip(NEXT) | instid1(VALU_DEP_1)
	v_fmaak_f64 v[48:49], v[46:47], v[48:49], 0x3fd24924924920da
	v_fmaak_f64 v[48:49], v[46:47], v[48:49], 0x3fd999999999999c
	s_delay_alu instid0(VALU_DEP_1) | instskip(NEXT) | instid1(VALU_DEP_1)
	v_mul_f64_e32 v[50:51], v[46:47], v[48:49]
	v_fma_f64 v[44:45], v[46:47], v[48:49], -v[50:51]
	s_delay_alu instid0(VALU_DEP_1) | instskip(NEXT) | instid1(VALU_DEP_1)
	v_fmac_f64_e32 v[44:45], v[42:43], v[48:49]
	v_add_f64_e32 v[48:49], v[50:51], v[44:45]
	s_delay_alu instid0(VALU_DEP_1) | instskip(SKIP_1) | instid1(VALU_DEP_2)
	v_add_f64_e32 v[52:53], 0x3fe5555555555555, v[48:49]
	v_add_f64_e64 v[50:51], v[48:49], -v[50:51]
	v_add_f64_e32 v[56:57], 0xbfe5555555555555, v[52:53]
	s_delay_alu instid0(VALU_DEP_2) | instskip(SKIP_1) | instid1(VALU_DEP_3)
	v_add_f64_e64 v[44:45], v[44:45], -v[50:51]
	v_fma_f64 v[50:51], v[46:47], v[40:41], -v[54:55]
	v_add_f64_e64 v[48:49], v[48:49], -v[56:57]
	s_delay_alu instid0(VALU_DEP_3) | instskip(NEXT) | instid1(VALU_DEP_3)
	v_add_f64_e32 v[44:45], 0x3c8543b0d5df274d, v[44:45]
	v_fmac_f64_e32 v[50:51], v[46:47], v[38:39]
	v_ldexp_f64 v[38:39], v[38:39], 1
	s_delay_alu instid0(VALU_DEP_3) | instskip(NEXT) | instid1(VALU_DEP_3)
	v_add_f64_e32 v[44:45], v[44:45], v[48:49]
	v_fmac_f64_e32 v[50:51], v[42:43], v[40:41]
	v_ldexp_f64 v[40:41], v[40:41], 1
	s_delay_alu instid0(VALU_DEP_3) | instskip(NEXT) | instid1(VALU_DEP_3)
	v_add_f64_e32 v[42:43], v[52:53], v[44:45]
	v_add_f64_e32 v[46:47], v[54:55], v[50:51]
	s_delay_alu instid0(VALU_DEP_2) | instskip(NEXT) | instid1(VALU_DEP_2)
	v_add_f64_e64 v[48:49], v[52:53], -v[42:43]
	v_mul_f64_e32 v[52:53], v[46:47], v[42:43]
	v_add_f64_e64 v[54:55], v[46:47], -v[54:55]
	s_delay_alu instid0(VALU_DEP_3) | instskip(NEXT) | instid1(VALU_DEP_3)
	v_add_f64_e32 v[44:45], v[44:45], v[48:49]
	v_fma_f64 v[48:49], v[46:47], v[42:43], -v[52:53]
	s_delay_alu instid0(VALU_DEP_3) | instskip(NEXT) | instid1(VALU_DEP_2)
	v_add_f64_e64 v[50:51], v[50:51], -v[54:55]
	v_fmac_f64_e32 v[48:49], v[46:47], v[44:45]
	v_cvt_f64_i32_e32 v[44:45], v27
	v_cndmask_b32_e64 v27, 2.0, 0x3ff00000, vcc_lo
	s_delay_alu instid0(VALU_DEP_3) | instskip(NEXT) | instid1(VALU_DEP_1)
	v_fmac_f64_e32 v[48:49], v[50:51], v[42:43]
	v_add_f64_e32 v[42:43], v[52:53], v[48:49]
	s_delay_alu instid0(VALU_DEP_1) | instskip(SKIP_2) | instid1(VALU_DEP_3)
	v_add_f64_e32 v[46:47], v[40:41], v[42:43]
	v_add_f64_e64 v[50:51], v[42:43], -v[52:53]
	v_mul_f64_e32 v[52:53], 0x3fe62e42fefa39ef, v[44:45]
	v_add_f64_e64 v[40:41], v[46:47], -v[40:41]
	s_delay_alu instid0(VALU_DEP_3) | instskip(NEXT) | instid1(VALU_DEP_3)
	v_add_f64_e64 v[48:49], v[48:49], -v[50:51]
	v_fma_f64 v[50:51], v[44:45], s[22:23], -v[52:53]
	s_delay_alu instid0(VALU_DEP_3) | instskip(NEXT) | instid1(VALU_DEP_3)
	v_add_f64_e64 v[40:41], v[42:43], -v[40:41]
	v_add_f64_e32 v[38:39], v[38:39], v[48:49]
	s_delay_alu instid0(VALU_DEP_3) | instskip(NEXT) | instid1(VALU_DEP_2)
	v_fmac_f64_e32 v[50:51], 0x3c7abc9e3b39803f, v[44:45]
	v_add_f64_e32 v[38:39], v[38:39], v[40:41]
	s_delay_alu instid0(VALU_DEP_2) | instskip(NEXT) | instid1(VALU_DEP_2)
	v_add_f64_e32 v[40:41], v[52:53], v[50:51]
	v_add_f64_e32 v[42:43], v[46:47], v[38:39]
	s_delay_alu instid0(VALU_DEP_2) | instskip(NEXT) | instid1(VALU_DEP_2)
	v_add_f64_e64 v[52:53], v[40:41], -v[52:53]
	v_add_f64_e32 v[44:45], v[40:41], v[42:43]
	v_add_f64_e64 v[46:47], v[42:43], -v[46:47]
	s_delay_alu instid0(VALU_DEP_3) | instskip(NEXT) | instid1(VALU_DEP_3)
	v_add_f64_e64 v[50:51], v[50:51], -v[52:53]
	v_add_f64_e64 v[48:49], v[44:45], -v[40:41]
	s_delay_alu instid0(VALU_DEP_3) | instskip(NEXT) | instid1(VALU_DEP_2)
	v_add_f64_e64 v[38:39], v[38:39], -v[46:47]
	v_add_f64_e64 v[54:55], v[44:45], -v[48:49]
	;; [unrolled: 1-line block ×3, first 2 shown]
	s_delay_alu instid0(VALU_DEP_3) | instskip(NEXT) | instid1(VALU_DEP_3)
	v_add_f64_e32 v[46:47], v[50:51], v[38:39]
	v_add_f64_e64 v[40:41], v[40:41], -v[54:55]
	s_delay_alu instid0(VALU_DEP_1) | instskip(NEXT) | instid1(VALU_DEP_3)
	v_add_f64_e32 v[40:41], v[42:43], v[40:41]
	v_add_f64_e64 v[42:43], v[46:47], -v[50:51]
	s_delay_alu instid0(VALU_DEP_2) | instskip(NEXT) | instid1(VALU_DEP_2)
	v_add_f64_e32 v[40:41], v[46:47], v[40:41]
	v_add_f64_e64 v[46:47], v[46:47], -v[42:43]
	v_add_f64_e64 v[38:39], v[38:39], -v[42:43]
	s_delay_alu instid0(VALU_DEP_3) | instskip(NEXT) | instid1(VALU_DEP_3)
	v_add_f64_e32 v[48:49], v[44:45], v[40:41]
	v_add_f64_e64 v[42:43], v[50:51], -v[46:47]
	v_div_scale_f64 v[50:51], null, v[36:37], v[36:37], 0xc0080000
	s_delay_alu instid0(VALU_DEP_3) | instskip(NEXT) | instid1(VALU_DEP_3)
	v_add_f64_e64 v[44:45], v[48:49], -v[44:45]
	v_add_f64_e32 v[38:39], v[38:39], v[42:43]
	s_delay_alu instid0(VALU_DEP_3) | instskip(NEXT) | instid1(VALU_DEP_2)
	v_rcp_f64_e32 v[54:55], v[50:51]
	v_add_f64_e64 v[40:41], v[40:41], -v[44:45]
	s_delay_alu instid0(TRANS32_DEP_1) | instskip(NEXT) | instid1(VALU_DEP_2)
	v_fma_f64 v[56:57], -v[50:51], v[54:55], 1.0
	v_add_f64_e32 v[38:39], v[38:39], v[40:41]
	s_delay_alu instid0(VALU_DEP_2) | instskip(NEXT) | instid1(VALU_DEP_2)
	v_fmac_f64_e32 v[54:55], v[54:55], v[56:57]
	v_add_f64_e32 v[40:41], v[48:49], v[38:39]
	s_delay_alu instid0(VALU_DEP_1) | instskip(SKIP_1) | instid1(VALU_DEP_2)
	v_add_f64_e64 v[42:43], v[40:41], -v[48:49]
	v_mul_f64_e32 v[44:45], v[26:27], v[40:41]
	v_add_f64_e64 v[38:39], v[38:39], -v[42:43]
	s_delay_alu instid0(VALU_DEP_2) | instskip(SKIP_1) | instid1(VALU_DEP_2)
	v_fma_f64 v[40:41], v[26:27], v[40:41], -v[44:45]
	v_cmp_class_f64_e64 vcc_lo, v[44:45], 0x204
	v_fmac_f64_e32 v[40:41], v[26:27], v[38:39]
	s_delay_alu instid0(VALU_DEP_1) | instskip(NEXT) | instid1(VALU_DEP_1)
	v_add_f64_e32 v[38:39], v[44:45], v[40:41]
	v_dual_cndmask_b32 v43, v39, v45 :: v_dual_cndmask_b32 v42, v38, v44
	v_add_f64_e64 v[38:39], v[38:39], -v[44:45]
	s_delay_alu instid0(VALU_DEP_2)
	v_mul_f64_e32 v[46:47], 0x3ff71547652b82fe, v[42:43]
	v_cmp_neq_f64_e64 s0, 0x7ff00000, |v[42:43]|
	v_cmp_nlt_f64_e64 s1, 0x40900000, v[42:43]
	v_cmp_ngt_f64_e64 s2, 0xc090cc00, v[42:43]
	v_add_f64_e64 v[38:39], v[40:41], -v[38:39]
	v_mul_f64_e32 v[40:41], 0.5, v[26:27]
	v_rndne_f64_e32 v[46:47], v[46:47]
	s_delay_alu instid0(VALU_DEP_3) | instskip(SKIP_1) | instid1(VALU_DEP_2)
	v_dual_cndmask_b32 v39, 0, v39, s0 :: v_dual_cndmask_b32 v38, 0, v38, s0
	s_and_b32 s0, s2, s1
	v_fmamk_f64 v[48:49], v[46:47], 0xbfe62e42fefa39ef, v[42:43]
	v_cvt_i32_f64_e32 v56, v[46:47]
	s_delay_alu instid0(VALU_DEP_2) | instskip(NEXT) | instid1(VALU_DEP_1)
	v_fmac_f64_e32 v[48:49], 0xbc7abc9e3b39803f, v[46:47]
	v_fmamk_f64 v[52:53], v[48:49], 0x3e5ade156a5dcb37, v[24:25]
	s_delay_alu instid0(VALU_DEP_1) | instskip(NEXT) | instid1(VALU_DEP_1)
	v_fmaak_f64 v[52:53], v[48:49], v[52:53], 0x3ec71dee623fde64
	v_fmaak_f64 v[52:53], v[48:49], v[52:53], 0x3efa01997c89e6b0
	s_delay_alu instid0(VALU_DEP_1) | instskip(NEXT) | instid1(VALU_DEP_1)
	v_fmaak_f64 v[52:53], v[48:49], v[52:53], 0x3f2a01a014761f6e
	v_fmaak_f64 v[52:53], v[48:49], v[52:53], 0x3f56c16c1852b7b0
	;; [unrolled: 3-line block ×4, first 2 shown]
	s_delay_alu instid0(VALU_DEP_1) | instskip(NEXT) | instid1(VALU_DEP_1)
	v_fma_f64 v[52:53], v[48:49], v[52:53], 1.0
	v_fma_f64 v[46:47], v[48:49], v[52:53], 1.0
	v_fma_f64 v[48:49], -v[50:51], v[54:55], 1.0
	v_trunc_f64_e32 v[52:53], v[26:27]
	s_delay_alu instid0(VALU_DEP_3) | instskip(SKIP_1) | instid1(VALU_DEP_4)
	v_ldexp_f64 v[44:45], v[46:47], v56
	v_div_scale_f64 v[46:47], vcc_lo, 0xc0080000, v[36:37], 0xc0080000
	v_fmac_f64_e32 v[54:55], v[54:55], v[48:49]
	v_trunc_f64_e32 v[48:49], v[40:41]
	s_delay_alu instid0(VALU_DEP_4) | instskip(NEXT) | instid1(VALU_DEP_3)
	v_cndmask_b32_e64 v45, 0x7ff00000, v45, s1
	v_dual_mul_f64 v[42:43], v[46:47], v[54:55] :: v_dual_cndmask_b32 v44, 0, v44, s0
	s_delay_alu instid0(VALU_DEP_3) | instskip(NEXT) | instid1(VALU_DEP_3)
	v_cmp_neq_f64_e64 s0, v[48:49], v[40:41]
	v_cndmask_b32_e64 v45, 0, v45, s2
	v_cmp_eq_f64_e64 s2, v[52:53], v[26:27]
	s_delay_alu instid0(VALU_DEP_2) | instskip(SKIP_2) | instid1(VALU_DEP_2)
	v_fma_f64 v[38:39], v[44:45], v[38:39], v[44:45]
	v_cmp_class_f64_e64 s1, v[44:45], 0x204
	v_fma_f64 v[46:47], -v[50:51], v[42:43], v[46:47]
	v_dual_cndmask_b32 v27, v39, v45, s1 :: v_dual_cndmask_b32 v38, v38, v44, s1
	v_cmp_eq_f64_e64 s1, 0, v[34:35]
	s_delay_alu instid0(VALU_DEP_2) | instskip(NEXT) | instid1(VALU_DEP_4)
	v_cndmask_b32_e64 v39, 0, v38, s2
	v_div_fmas_f64 v[40:41], v[46:47], v[54:55], v[42:43]
	s_and_b32 vcc_lo, s2, s0
	v_cmp_gt_f64_e64 s0, 0, v[34:35]
	v_cndmask_b32_e32 v42, 0x3ff00000, v35, vcc_lo
	s_delay_alu instid0(VALU_DEP_1) | instskip(NEXT) | instid1(VALU_DEP_1)
	v_bfi_b32 v27, 0x7fffffff, v27, v42
	v_cndmask_b32_e64 v42, 0x7ff80000, v27, s2
	v_cmp_class_f64_e64 s2, v[34:35], 0x204
	v_cndmask_b32_e64 v34, 0x7ff00000, 0, s1
	v_cndmask_b32_e32 v35, 0, v35, vcc_lo
	s_delay_alu instid0(VALU_DEP_1)
	v_bfi_b32 v35, 0x7fffffff, v34, v35
	v_div_fixup_f64 v[36:37], v[40:41], v[36:37], 0xc0080000
	v_dual_cndmask_b32 v27, v27, v42, s0 :: v_dual_cndmask_b32 v38, v38, v39, s0
	s_or_b32 vcc_lo, s1, s2
	s_delay_alu instid0(VALU_DEP_1) | instid1(SALU_CYCLE_1)
	v_cndmask_b32_e64 v34, v38, 0, vcc_lo
	s_delay_alu instid0(VALU_DEP_2) | instskip(NEXT) | instid1(VALU_DEP_1)
	v_cndmask_b32_e32 v35, v27, v35, vcc_lo
	v_mul_f64_e32 v[38:39], v[36:37], v[34:35]
.LBB0_9:                                ;   in Loop: Header=BB0_5 Depth=1
	s_or_b32 exec_lo, exec_lo, s5
                                        ; implicit-def: $vgpr34_vgpr35
.LBB0_10:                               ;   in Loop: Header=BB0_5 Depth=1
	s_and_not1_saveexec_b32 s0, s4
	s_cbranch_execz .LBB0_3
; %bb.11:                               ;   in Loop: Header=BB0_5 Depth=1
	v_fmaak_f64 v[34:35], s[24:25], v[34:35], 0x40080000
	s_delay_alu instid0(VALU_DEP_1)
	v_mul_f64_e32 v[38:39], v[20:21], v[34:35]
	s_branch .LBB0_3
.LBB0_12:
	s_clause 0x1
	s_load_b64 s[2:3], s[12:13], 0x0
	s_load_b64 s[0:1], s[12:13], 0x40
	s_wait_loadcnt 0x0
	s_wait_kmcnt 0x0
	s_delay_alu instid0(VALU_DEP_1) | instskip(SKIP_1) | instid1(VALU_DEP_2)
	v_div_scale_f64 v[6:7], null, s[2:3], s[2:3], v[0:1]
	v_mul_f64_e64 v[2:3], s[2:3], s[0:1]
	v_rcp_f64_e32 v[10:11], v[6:7]
	s_delay_alu instid0(VALU_DEP_1) | instskip(NEXT) | instid1(VALU_DEP_1)
	v_mul_f64_e32 v[2:3], s[0:1], v[2:3]
	v_div_scale_f64 v[4:5], null, 0x401c0000, 0x401c0000, v[2:3]
	v_div_scale_f64 v[18:19], vcc_lo, v[2:3], 0x401c0000, v[2:3]
	s_delay_alu instid0(TRANS32_DEP_1) | instskip(NEXT) | instid1(VALU_DEP_3)
	v_fma_f64 v[16:17], -v[6:7], v[10:11], 1.0
	v_rcp_f64_e32 v[8:9], v[4:5]
	s_delay_alu instid0(VALU_DEP_1) | instskip(NEXT) | instid1(VALU_DEP_1)
	v_fmac_f64_e32 v[10:11], v[10:11], v[16:17]
	v_fma_f64 v[16:17], -v[6:7], v[10:11], 1.0
	s_delay_alu instid0(TRANS32_DEP_1) | instskip(NEXT) | instid1(VALU_DEP_2)
	v_fma_f64 v[12:13], -v[4:5], v[8:9], 1.0
	v_fmac_f64_e32 v[10:11], v[10:11], v[16:17]
	s_delay_alu instid0(VALU_DEP_2) | instskip(NEXT) | instid1(VALU_DEP_1)
	v_fmac_f64_e32 v[8:9], v[8:9], v[12:13]
	v_fma_f64 v[12:13], -v[4:5], v[8:9], 1.0
	s_delay_alu instid0(VALU_DEP_1) | instskip(SKIP_1) | instid1(VALU_DEP_2)
	v_fmac_f64_e32 v[8:9], v[8:9], v[12:13]
	v_div_scale_f64 v[12:13], s0, v[0:1], s[2:3], v[0:1]
	v_mul_f64_e32 v[16:17], v[18:19], v[8:9]
	s_delay_alu instid0(VALU_DEP_2) | instskip(NEXT) | instid1(VALU_DEP_2)
	v_mul_f64_e32 v[20:21], v[12:13], v[10:11]
	v_fma_f64 v[4:5], -v[4:5], v[16:17], v[18:19]
	s_delay_alu instid0(VALU_DEP_2) | instskip(NEXT) | instid1(VALU_DEP_2)
	v_fma_f64 v[6:7], -v[6:7], v[20:21], v[12:13]
	v_div_fmas_f64 v[4:5], v[4:5], v[8:9], v[16:17]
	s_mov_b32 vcc_lo, s0
	s_mov_b64 s[0:1], 0x3fe5555555555555
	s_delay_alu instid0(VALU_DEP_2) | instskip(NEXT) | instid1(VALU_DEP_1)
	v_div_fmas_f64 v[6:7], v[6:7], v[10:11], v[20:21]
	v_div_fixup_f64 v[6:7], v[6:7], s[2:3], v[0:1]
	s_delay_alu instid0(VALU_DEP_1) | instskip(SKIP_1) | instid1(VALU_DEP_2)
	v_frexp_mant_f64_e64 v[8:9], |v[6:7]|
	v_cmp_class_f64_e64 s2, v[6:7], 0x204
	v_cmp_gt_f64_e32 vcc_lo, s[0:1], v[8:9]
	s_mov_b64 s[0:1], 0x3fbdee674222de17
	v_cndmask_b32_e64 v10, 0, 1, vcc_lo
	s_delay_alu instid0(VALU_DEP_1) | instskip(NEXT) | instid1(VALU_DEP_1)
	v_ldexp_f64 v[8:9], v[8:9], v10
	v_add_f64_e32 v[10:11], 1.0, v[8:9]
	v_add_f64_e32 v[18:19], -1.0, v[8:9]
	s_delay_alu instid0(VALU_DEP_2) | instskip(SKIP_1) | instid1(VALU_DEP_1)
	v_rcp_f64_e32 v[12:13], v[10:11]
	v_add_f64_e32 v[20:21], -1.0, v[10:11]
	v_add_f64_e64 v[8:9], v[8:9], -v[20:21]
	s_delay_alu instid0(TRANS32_DEP_1) | instskip(NEXT) | instid1(VALU_DEP_1)
	v_fma_f64 v[16:17], -v[10:11], v[12:13], 1.0
	v_fmac_f64_e32 v[12:13], v[16:17], v[12:13]
	s_delay_alu instid0(VALU_DEP_1) | instskip(NEXT) | instid1(VALU_DEP_1)
	v_fma_f64 v[16:17], -v[10:11], v[12:13], 1.0
	v_fmac_f64_e32 v[12:13], v[16:17], v[12:13]
	s_delay_alu instid0(VALU_DEP_1) | instskip(NEXT) | instid1(VALU_DEP_1)
	v_mul_f64_e32 v[16:17], v[18:19], v[12:13]
	v_mul_f64_e32 v[22:23], v[10:11], v[16:17]
	s_delay_alu instid0(VALU_DEP_1) | instskip(NEXT) | instid1(VALU_DEP_1)
	v_fma_f64 v[10:11], v[16:17], v[10:11], -v[22:23]
	v_fmac_f64_e32 v[10:11], v[16:17], v[8:9]
	s_delay_alu instid0(VALU_DEP_1) | instskip(NEXT) | instid1(VALU_DEP_1)
	v_add_f64_e32 v[8:9], v[22:23], v[10:11]
	v_add_f64_e64 v[20:21], v[18:19], -v[8:9]
	v_add_f64_e64 v[22:23], v[8:9], -v[22:23]
	s_delay_alu instid0(VALU_DEP_2) | instskip(NEXT) | instid1(VALU_DEP_2)
	v_add_f64_e64 v[18:19], v[18:19], -v[20:21]
	v_add_f64_e64 v[10:11], v[22:23], -v[10:11]
	s_delay_alu instid0(VALU_DEP_2) | instskip(NEXT) | instid1(VALU_DEP_1)
	v_add_f64_e64 v[8:9], v[18:19], -v[8:9]
	v_add_f64_e32 v[8:9], v[10:11], v[8:9]
	s_delay_alu instid0(VALU_DEP_1) | instskip(NEXT) | instid1(VALU_DEP_1)
	v_add_f64_e32 v[8:9], v[20:21], v[8:9]
	v_mul_f64_e32 v[8:9], v[12:13], v[8:9]
	s_delay_alu instid0(VALU_DEP_1) | instskip(NEXT) | instid1(VALU_DEP_1)
	v_add_f64_e32 v[10:11], v[16:17], v[8:9]
	v_add_f64_e64 v[12:13], v[10:11], -v[16:17]
	v_mul_f64_e32 v[16:17], v[10:11], v[10:11]
	s_delay_alu instid0(VALU_DEP_2) | instskip(NEXT) | instid1(VALU_DEP_2)
	v_add_f64_e64 v[8:9], v[8:9], -v[12:13]
	v_fma_f64 v[12:13], v[10:11], v[10:11], -v[16:17]
	s_delay_alu instid0(VALU_DEP_2) | instskip(NEXT) | instid1(VALU_DEP_1)
	v_add_f64_e32 v[18:19], v[8:9], v[8:9]
	v_fmac_f64_e32 v[12:13], v[10:11], v[18:19]
	s_delay_alu instid0(VALU_DEP_1) | instskip(NEXT) | instid1(VALU_DEP_1)
	v_add_f64_e32 v[18:19], v[16:17], v[12:13]
	v_fmaak_f64 v[20:21], s[0:1], v[18:19], 0x3fba6564968915a9
	v_add_f64_e64 v[16:17], v[18:19], -v[16:17]
	v_mul_f64_e32 v[26:27], v[10:11], v[18:19]
	s_mov_b64 s[0:1], 0x3fe62e42fefa39ef
	s_delay_alu instid0(VALU_DEP_3) | instskip(NEXT) | instid1(VALU_DEP_1)
	v_fmaak_f64 v[20:21], v[18:19], v[20:21], 0x3fbe25e43abe935a
	v_fmaak_f64 v[20:21], v[18:19], v[20:21], 0x3fc110ef47e6c9c2
	s_delay_alu instid0(VALU_DEP_1) | instskip(NEXT) | instid1(VALU_DEP_1)
	v_fmaak_f64 v[20:21], v[18:19], v[20:21], 0x3fc3b13bcfa74449
	v_fmaak_f64 v[20:21], v[18:19], v[20:21], 0x3fc745d171bf3c30
	v_add_f64_e64 v[12:13], v[12:13], -v[16:17]
	s_delay_alu instid0(VALU_DEP_2) | instskip(NEXT) | instid1(VALU_DEP_1)
	v_fmaak_f64 v[20:21], v[18:19], v[20:21], 0x3fcc71c71c7792ce
	v_fmaak_f64 v[20:21], v[18:19], v[20:21], 0x3fd24924924920da
	s_delay_alu instid0(VALU_DEP_1) | instskip(NEXT) | instid1(VALU_DEP_1)
	v_fmaak_f64 v[20:21], v[18:19], v[20:21], 0x3fd999999999999c
	v_mul_f64_e32 v[22:23], v[18:19], v[20:21]
	s_delay_alu instid0(VALU_DEP_1) | instskip(NEXT) | instid1(VALU_DEP_1)
	v_fma_f64 v[16:17], v[18:19], v[20:21], -v[22:23]
	v_fmac_f64_e32 v[16:17], v[12:13], v[20:21]
	s_delay_alu instid0(VALU_DEP_1) | instskip(NEXT) | instid1(VALU_DEP_1)
	v_add_f64_e32 v[20:21], v[22:23], v[16:17]
	v_add_f64_e32 v[24:25], 0x3fe5555555555555, v[20:21]
	v_add_f64_e64 v[22:23], v[20:21], -v[22:23]
	s_delay_alu instid0(VALU_DEP_2) | instskip(NEXT) | instid1(VALU_DEP_2)
	v_add_f64_e32 v[28:29], 0xbfe5555555555555, v[24:25]
	v_add_f64_e64 v[16:17], v[16:17], -v[22:23]
	v_fma_f64 v[22:23], v[18:19], v[10:11], -v[26:27]
	s_delay_alu instid0(VALU_DEP_3) | instskip(NEXT) | instid1(VALU_DEP_3)
	v_add_f64_e64 v[20:21], v[20:21], -v[28:29]
	v_add_f64_e32 v[16:17], 0x3c8543b0d5df274d, v[16:17]
	s_delay_alu instid0(VALU_DEP_3) | instskip(SKIP_1) | instid1(VALU_DEP_3)
	v_fmac_f64_e32 v[22:23], v[18:19], v[8:9]
	v_ldexp_f64 v[8:9], v[8:9], 1
	v_add_f64_e32 v[16:17], v[16:17], v[20:21]
	s_delay_alu instid0(VALU_DEP_3) | instskip(SKIP_1) | instid1(VALU_DEP_3)
	v_fmac_f64_e32 v[22:23], v[12:13], v[10:11]
	v_ldexp_f64 v[10:11], v[10:11], 1
	v_add_f64_e32 v[12:13], v[24:25], v[16:17]
	s_delay_alu instid0(VALU_DEP_3) | instskip(NEXT) | instid1(VALU_DEP_2)
	v_add_f64_e32 v[18:19], v[26:27], v[22:23]
	v_add_f64_e64 v[20:21], v[24:25], -v[12:13]
	s_delay_alu instid0(VALU_DEP_2) | instskip(SKIP_1) | instid1(VALU_DEP_3)
	v_mul_f64_e32 v[24:25], v[18:19], v[12:13]
	v_add_f64_e64 v[26:27], v[18:19], -v[26:27]
	v_add_f64_e32 v[16:17], v[16:17], v[20:21]
	s_delay_alu instid0(VALU_DEP_3) | instskip(NEXT) | instid1(VALU_DEP_3)
	v_fma_f64 v[20:21], v[18:19], v[12:13], -v[24:25]
	v_add_f64_e64 v[22:23], v[22:23], -v[26:27]
	s_delay_alu instid0(VALU_DEP_2) | instskip(NEXT) | instid1(VALU_DEP_1)
	v_fmac_f64_e32 v[20:21], v[18:19], v[16:17]
	v_fmac_f64_e32 v[20:21], v[22:23], v[12:13]
	v_frexp_exp_i32_f64_e32 v22, v[6:7]
	s_delay_alu instid0(VALU_DEP_2) | instskip(NEXT) | instid1(VALU_DEP_2)
	v_add_f64_e32 v[12:13], v[24:25], v[20:21]
	v_subrev_co_ci_u32_e64 v22, null, 0, v22, vcc_lo
	v_cmp_eq_f64_e32 vcc_lo, 1.0, v[6:7]
	s_delay_alu instid0(VALU_DEP_2) | instskip(NEXT) | instid1(VALU_DEP_4)
	v_cvt_f64_i32_e32 v[22:23], v22
	v_add_f64_e32 v[16:17], v[10:11], v[12:13]
	v_add_f64_e64 v[18:19], v[12:13], -v[24:25]
	s_delay_alu instid0(VALU_DEP_2) | instskip(NEXT) | instid1(VALU_DEP_2)
	v_add_f64_e64 v[10:11], v[16:17], -v[10:11]
	v_add_f64_e64 v[18:19], v[20:21], -v[18:19]
	v_mul_f64_e32 v[20:21], 0x3fe62e42fefa39ef, v[22:23]
	s_delay_alu instid0(VALU_DEP_3) | instskip(NEXT) | instid1(VALU_DEP_3)
	v_add_f64_e64 v[10:11], v[12:13], -v[10:11]
	v_add_f64_e32 v[8:9], v[8:9], v[18:19]
	s_delay_alu instid0(VALU_DEP_3) | instskip(SKIP_1) | instid1(VALU_DEP_2)
	v_fma_f64 v[12:13], v[22:23], s[0:1], -v[20:21]
	s_mov_b64 s[0:1], 0x3e5ade156a5dcb37
	v_add_f64_e32 v[8:9], v[8:9], v[10:11]
	s_delay_alu instid0(VALU_DEP_2) | instskip(NEXT) | instid1(VALU_DEP_1)
	v_fmamk_f64 v[10:11], v[22:23], 0x3c7abc9e3b39803f, v[12:13]
	v_add_f64_e32 v[12:13], v[20:21], v[10:11]
	s_delay_alu instid0(VALU_DEP_3) | instskip(NEXT) | instid1(VALU_DEP_2)
	v_add_f64_e32 v[18:19], v[16:17], v[8:9]
	v_add_f64_e64 v[20:21], v[12:13], -v[20:21]
	s_delay_alu instid0(VALU_DEP_2) | instskip(SKIP_1) | instid1(VALU_DEP_3)
	v_add_f64_e32 v[22:23], v[12:13], v[18:19]
	v_add_f64_e64 v[16:17], v[18:19], -v[16:17]
	v_add_f64_e64 v[10:11], v[10:11], -v[20:21]
	s_delay_alu instid0(VALU_DEP_3) | instskip(NEXT) | instid1(VALU_DEP_3)
	v_add_f64_e64 v[24:25], v[22:23], -v[12:13]
	v_add_f64_e64 v[8:9], v[8:9], -v[16:17]
	s_delay_alu instid0(VALU_DEP_2) | instskip(SKIP_1) | instid1(VALU_DEP_3)
	v_add_f64_e64 v[26:27], v[22:23], -v[24:25]
	v_add_f64_e64 v[16:17], v[18:19], -v[24:25]
	v_add_f64_e32 v[18:19], v[10:11], v[8:9]
	s_delay_alu instid0(VALU_DEP_3) | instskip(NEXT) | instid1(VALU_DEP_1)
	v_add_f64_e64 v[12:13], v[12:13], -v[26:27]
	v_add_f64_e32 v[12:13], v[16:17], v[12:13]
	s_delay_alu instid0(VALU_DEP_3) | instskip(NEXT) | instid1(VALU_DEP_2)
	v_add_f64_e64 v[16:17], v[18:19], -v[10:11]
	v_add_f64_e32 v[12:13], v[18:19], v[12:13]
	s_delay_alu instid0(VALU_DEP_2) | instskip(SKIP_1) | instid1(VALU_DEP_3)
	v_add_f64_e64 v[18:19], v[18:19], -v[16:17]
	v_add_f64_e64 v[8:9], v[8:9], -v[16:17]
	v_add_f64_e32 v[20:21], v[22:23], v[12:13]
	s_delay_alu instid0(VALU_DEP_3) | instskip(NEXT) | instid1(VALU_DEP_2)
	v_add_f64_e64 v[10:11], v[10:11], -v[18:19]
	v_add_f64_e64 v[16:17], v[20:21], -v[22:23]
	s_delay_alu instid0(VALU_DEP_2) | instskip(NEXT) | instid1(VALU_DEP_2)
	v_add_f64_e32 v[8:9], v[8:9], v[10:11]
	v_add_f64_e64 v[10:11], v[12:13], -v[16:17]
	v_dual_mov_b32 v13, 0x3ff00000 :: v_dual_mov_b32 v12, 0
	v_div_fixup_f64 v[2:3], v[4:5], 0x401c0000, v[2:3]
	s_delay_alu instid0(VALU_DEP_2) | instskip(NEXT) | instid1(VALU_DEP_4)
	v_cndmask_b32_e32 v13, 0x401c0000, v13, vcc_lo
	v_add_f64_e32 v[8:9], v[8:9], v[10:11]
	s_delay_alu instid0(VALU_DEP_1) | instskip(NEXT) | instid1(VALU_DEP_1)
	v_add_f64_e32 v[10:11], v[20:21], v[8:9]
	v_add_f64_e64 v[16:17], v[10:11], -v[20:21]
	s_delay_alu instid0(VALU_DEP_4) | instskip(NEXT) | instid1(VALU_DEP_2)
	v_mul_f64_e32 v[18:19], v[12:13], v[10:11]
	v_add_f64_e64 v[8:9], v[8:9], -v[16:17]
	s_delay_alu instid0(VALU_DEP_2) | instskip(SKIP_1) | instid1(VALU_DEP_2)
	v_fma_f64 v[10:11], v[12:13], v[10:11], -v[18:19]
	v_cmp_class_f64_e64 vcc_lo, v[18:19], 0x204
	v_fmac_f64_e32 v[10:11], v[12:13], v[8:9]
	s_delay_alu instid0(VALU_DEP_1) | instskip(NEXT) | instid1(VALU_DEP_1)
	v_add_f64_e32 v[8:9], v[18:19], v[10:11]
	v_dual_cndmask_b32 v17, v9, v19 :: v_dual_cndmask_b32 v16, v8, v18
	v_add_f64_e64 v[8:9], v[8:9], -v[18:19]
	s_delay_alu instid0(VALU_DEP_2) | instskip(SKIP_1) | instid1(VALU_DEP_3)
	v_mul_f64_e32 v[20:21], 0x3ff71547652b82fe, v[16:17]
	v_cmp_neq_f64_e64 vcc_lo, 0x7ff00000, |v[16:17]|
	v_add_f64_e64 v[8:9], v[10:11], -v[8:9]
	v_mul_f64_e32 v[10:11], 0.5, v[12:13]
	s_delay_alu instid0(VALU_DEP_4) | instskip(NEXT) | instid1(VALU_DEP_3)
	v_rndne_f64_e32 v[20:21], v[20:21]
	v_dual_cndmask_b32 v9, 0, v9 :: v_dual_cndmask_b32 v8, 0, v8
	s_delay_alu instid0(VALU_DEP_2) | instskip(SKIP_1) | instid1(VALU_DEP_2)
	v_fmamk_f64 v[22:23], v[20:21], 0xbfe62e42fefa39ef, v[16:17]
	v_cvt_i32_f64_e32 v26, v[20:21]
	v_fmamk_f64 v[22:23], v[20:21], 0xbc7abc9e3b39803f, v[22:23]
	s_delay_alu instid0(VALU_DEP_1) | instskip(SKIP_2) | instid1(VALU_DEP_3)
	v_fmaak_f64 v[24:25], s[0:1], v[22:23], 0x3e928af3fca7ab0c
	v_cmp_nlt_f64_e64 s0, 0x40900000, v[16:17]
	v_cmp_ngt_f64_e64 s1, 0xc090cc00, v[16:17]
	v_fmaak_f64 v[24:25], v[22:23], v[24:25], 0x3ec71dee623fde64
	s_delay_alu instid0(VALU_DEP_1) | instskip(NEXT) | instid1(VALU_DEP_1)
	v_fmaak_f64 v[24:25], v[22:23], v[24:25], 0x3efa01997c89e6b0
	v_fmaak_f64 v[24:25], v[22:23], v[24:25], 0x3f2a01a014761f6e
	s_delay_alu instid0(VALU_DEP_1) | instskip(SKIP_1) | instid1(VALU_DEP_1)
	v_fmaak_f64 v[24:25], v[22:23], v[24:25], 0x3f56c16c1852b7b0
	s_and_b32 vcc_lo, s1, s0
	v_fmaak_f64 v[24:25], v[22:23], v[24:25], 0x3f81111111122322
	s_delay_alu instid0(VALU_DEP_1) | instskip(NEXT) | instid1(VALU_DEP_1)
	v_fmaak_f64 v[24:25], v[22:23], v[24:25], 0x3fa55555555502a1
	v_fmaak_f64 v[24:25], v[22:23], v[24:25], 0x3fc5555555555511
	s_delay_alu instid0(VALU_DEP_1) | instskip(NEXT) | instid1(VALU_DEP_1)
	v_fmaak_f64 v[24:25], v[22:23], v[24:25], 0x3fe000000000000b
	v_fma_f64 v[24:25], v[22:23], v[24:25], 1.0
	s_delay_alu instid0(VALU_DEP_1) | instskip(NEXT) | instid1(VALU_DEP_1)
	v_fma_f64 v[20:21], v[22:23], v[24:25], 1.0
	v_ldexp_f64 v[18:19], v[20:21], v26
	v_trunc_f64_e32 v[20:21], v[12:13]
	s_delay_alu instid0(VALU_DEP_2) | instskip(NEXT) | instid1(VALU_DEP_1)
	v_cndmask_b32_e64 v19, 0x7ff00000, v19, s0
	v_dual_cndmask_b32 v16, 0, v18, vcc_lo :: v_dual_cndmask_b32 v17, 0, v19, s1
	v_trunc_f64_e32 v[18:19], v[10:11]
	s_delay_alu instid0(VALU_DEP_4) | instskip(NEXT) | instid1(VALU_DEP_3)
	v_cmp_eq_f64_e64 s1, v[20:21], v[12:13]
	v_fma_f64 v[8:9], v[16:17], v[8:9], v[16:17]
	v_cmp_class_f64_e64 s0, v[16:17], 0x204
	s_delay_alu instid0(VALU_DEP_4) | instskip(NEXT) | instid1(VALU_DEP_2)
	v_cmp_neq_f64_e32 vcc_lo, v[18:19], v[10:11]
	v_dual_cndmask_b32 v9, v9, v17, s0 :: v_dual_cndmask_b32 v8, v8, v16, s0
	v_cmp_gt_f64_e64 s0, 0, v[6:7]
	s_delay_alu instid0(VALU_DEP_2) | instskip(SKIP_3) | instid1(VALU_DEP_2)
	v_cndmask_b32_e64 v10, 0, v8, s1
	s_and_b32 vcc_lo, s1, vcc_lo
	v_cndmask_b32_e32 v11, 0x3ff00000, v7, vcc_lo
	v_cndmask_b32_e32 v13, 0, v7, vcc_lo
	v_bfi_b32 v9, 0x7fffffff, v9, v11
	v_cndmask_b32_e64 v8, v8, v10, s0
	s_delay_alu instid0(VALU_DEP_2) | instskip(SKIP_1) | instid1(VALU_DEP_2)
	v_cndmask_b32_e64 v11, 0x7ff80000, v9, s1
	v_cmp_eq_f64_e64 s1, 0, v[6:7]
	v_cndmask_b32_e64 v9, v9, v11, s0
	s_delay_alu instid0(VALU_DEP_2) | instskip(SKIP_1) | instid1(SALU_CYCLE_1)
	v_cndmask_b32_e64 v12, 0x7ff00000, 0, s1
	s_or_b32 vcc_lo, s1, s2
	v_cndmask_b32_e64 v8, v8, 0, vcc_lo
	s_delay_alu instid0(VALU_DEP_2) | instskip(NEXT) | instid1(VALU_DEP_1)
	v_bfi_b32 v10, 0x7fffffff, v12, v13
	v_cndmask_b32_e32 v9, v9, v10, vcc_lo
	v_cmp_o_f64_e32 vcc_lo, v[6:7], v[6:7]
	s_delay_alu instid0(VALU_DEP_2) | instskip(NEXT) | instid1(VALU_DEP_1)
	v_add_f64_e32 v[8:9], -1.0, v[8:9]
	v_cndmask_b32_e32 v5, 0x7ff80000, v9, vcc_lo
	s_delay_alu instid0(VALU_DEP_2) | instskip(NEXT) | instid1(VALU_DEP_1)
	v_cndmask_b32_e32 v4, 0, v8, vcc_lo
	v_mul_f64_e32 v[2:3], v[2:3], v[4:5]
	global_store_b128 v[14:15], v[0:3], off
.LBB0_13:
	s_endpgm
	.section	.rodata,"a",@progbits
	.p2align	6, 0x0
	.amdhsa_kernel _Z15updatePressuresP14fluid_particlePK5param
		.amdhsa_group_segment_fixed_size 0
		.amdhsa_private_segment_fixed_size 0
		.amdhsa_kernarg_size 272
		.amdhsa_user_sgpr_count 2
		.amdhsa_user_sgpr_dispatch_ptr 0
		.amdhsa_user_sgpr_queue_ptr 0
		.amdhsa_user_sgpr_kernarg_segment_ptr 1
		.amdhsa_user_sgpr_dispatch_id 0
		.amdhsa_user_sgpr_kernarg_preload_length 0
		.amdhsa_user_sgpr_kernarg_preload_offset 0
		.amdhsa_user_sgpr_private_segment_size 0
		.amdhsa_wavefront_size32 1
		.amdhsa_uses_dynamic_stack 0
		.amdhsa_enable_private_segment 0
		.amdhsa_system_sgpr_workgroup_id_x 1
		.amdhsa_system_sgpr_workgroup_id_y 0
		.amdhsa_system_sgpr_workgroup_id_z 0
		.amdhsa_system_sgpr_workgroup_info 0
		.amdhsa_system_vgpr_workitem_id 0
		.amdhsa_next_free_vgpr 58
		.amdhsa_next_free_sgpr 29
		.amdhsa_named_barrier_count 0
		.amdhsa_reserve_vcc 1
		.amdhsa_float_round_mode_32 0
		.amdhsa_float_round_mode_16_64 0
		.amdhsa_float_denorm_mode_32 3
		.amdhsa_float_denorm_mode_16_64 3
		.amdhsa_fp16_overflow 0
		.amdhsa_memory_ordered 1
		.amdhsa_forward_progress 1
		.amdhsa_inst_pref_size 36
		.amdhsa_round_robin_scheduling 0
		.amdhsa_exception_fp_ieee_invalid_op 0
		.amdhsa_exception_fp_denorm_src 0
		.amdhsa_exception_fp_ieee_div_zero 0
		.amdhsa_exception_fp_ieee_overflow 0
		.amdhsa_exception_fp_ieee_underflow 0
		.amdhsa_exception_fp_ieee_inexact 0
		.amdhsa_exception_int_div_zero 0
	.end_amdhsa_kernel
	.text
.Lfunc_end0:
	.size	_Z15updatePressuresP14fluid_particlePK5param, .Lfunc_end0-_Z15updatePressuresP14fluid_particlePK5param
                                        ; -- End function
	.set _Z15updatePressuresP14fluid_particlePK5param.num_vgpr, 58
	.set _Z15updatePressuresP14fluid_particlePK5param.num_agpr, 0
	.set _Z15updatePressuresP14fluid_particlePK5param.numbered_sgpr, 29
	.set _Z15updatePressuresP14fluid_particlePK5param.num_named_barrier, 0
	.set _Z15updatePressuresP14fluid_particlePK5param.private_seg_size, 0
	.set _Z15updatePressuresP14fluid_particlePK5param.uses_vcc, 1
	.set _Z15updatePressuresP14fluid_particlePK5param.uses_flat_scratch, 0
	.set _Z15updatePressuresP14fluid_particlePK5param.has_dyn_sized_stack, 0
	.set _Z15updatePressuresP14fluid_particlePK5param.has_recursion, 0
	.set _Z15updatePressuresP14fluid_particlePK5param.has_indirect_call, 0
	.section	.AMDGPU.csdata,"",@progbits
; Kernel info:
; codeLenInByte = 4552
; TotalNumSgprs: 31
; NumVgprs: 58
; ScratchSize: 0
; MemoryBound: 1
; FloatMode: 240
; IeeeMode: 1
; LDSByteSize: 0 bytes/workgroup (compile time only)
; SGPRBlocks: 0
; VGPRBlocks: 3
; NumSGPRsForWavesPerEU: 31
; NumVGPRsForWavesPerEU: 58
; NamedBarCnt: 0
; Occupancy: 16
; WaveLimiterHint : 0
; COMPUTE_PGM_RSRC2:SCRATCH_EN: 0
; COMPUTE_PGM_RSRC2:USER_SGPR: 2
; COMPUTE_PGM_RSRC2:TRAP_HANDLER: 0
; COMPUTE_PGM_RSRC2:TGID_X_EN: 1
; COMPUTE_PGM_RSRC2:TGID_Y_EN: 0
; COMPUTE_PGM_RSRC2:TGID_Z_EN: 0
; COMPUTE_PGM_RSRC2:TIDIG_COMP_CNT: 0
	.text
	.protected	_Z21updateAccelerationsFPP14fluid_particlePK5param ; -- Begin function _Z21updateAccelerationsFPP14fluid_particlePK5param
	.globl	_Z21updateAccelerationsFPP14fluid_particlePK5param
	.p2align	8
	.type	_Z21updateAccelerationsFPP14fluid_particlePK5param,@function
_Z21updateAccelerationsFPP14fluid_particlePK5param: ; @_Z21updateAccelerationsFPP14fluid_particlePK5param
; %bb.0:
	s_clause 0x1
	s_load_b64 s[20:21], s[0:1], 0x8
	s_load_b32 s2, s[0:1], 0x1c
	s_bfe_u32 s3, ttmp6, 0x4000c
	s_and_b32 s4, ttmp6, 15
	s_add_co_i32 s3, s3, 1
	s_getreg_b32 s5, hwreg(HW_REG_IB_STS2, 6, 4)
	s_mul_i32 s3, ttmp9, s3
	s_delay_alu instid0(SALU_CYCLE_1)
	s_add_co_i32 s4, s4, s3
	s_wait_kmcnt 0x0
	s_load_b32 s33, s[20:21], 0x4c
	s_and_b32 s2, s2, 0xffff
	s_cmp_eq_u32 s5, 0
	s_cselect_b32 s3, ttmp9, s4
	s_delay_alu instid0(SALU_CYCLE_1) | instskip(SKIP_2) | instid1(VALU_DEP_1)
	v_mad_u32 v54, s3, s2, v0
	s_mov_b32 s2, exec_lo
	s_wait_kmcnt 0x0
	v_cmpx_gt_i32_e64 s33, v54
	s_cbranch_execz .LBB1_34
; %bb.1:
	s_load_b64 s[22:23], s[0:1], 0x0
	s_cmp_lt_i32 s33, 1
	s_wait_kmcnt 0x0
	v_mad_nc_i64_i32 v[20:21], 0x70, v54, s[22:23]
	s_cbranch_scc1 .LBB1_32
; %bb.2:
	s_clause 0x3
	global_load_b128 v[4:7], v[20:21], off
	global_load_b128 v[8:11], v[20:21], off offset:16
	global_load_b128 v[12:15], v[20:21], off offset:48
	;; [unrolled: 1-line block ×3, first 2 shown]
	v_mov_b32_e32 v55, 0x3ff00000
	s_mov_b64 s[24:25], 0x400921fb54442d18
	s_mov_b64 s[26:27], 0x3fe5555555555555
	;; [unrolled: 1-line block ×5, first 2 shown]
                                        ; implicit-def: $vgpr30_vgpr31
                                        ; implicit-def: $vgpr30_vgpr31
	;; [unrolled: 1-line block ×15, first 2 shown]
	s_wait_loadcnt 0x3
	v_dual_mul_f64 v[0:1], v[4:5], v[4:5] :: v_dual_mov_b32 v28, 0
	s_delay_alu instid0(VALU_DEP_1) | instskip(NEXT) | instid1(VALU_DEP_1)
	v_div_scale_f64 v[2:3], null, v[0:1], v[0:1], v[6:7]
	v_rcp_f64_e32 v[22:23], v[2:3]
	v_nop
	s_delay_alu instid0(TRANS32_DEP_1) | instskip(NEXT) | instid1(VALU_DEP_1)
	v_fma_f64 v[24:25], -v[2:3], v[22:23], 1.0
	v_fmac_f64_e32 v[22:23], v[22:23], v[24:25]
	s_delay_alu instid0(VALU_DEP_1) | instskip(NEXT) | instid1(VALU_DEP_1)
	v_fma_f64 v[24:25], -v[2:3], v[22:23], 1.0
	v_fmac_f64_e32 v[22:23], v[22:23], v[24:25]
	v_div_scale_f64 v[24:25], vcc_lo, v[6:7], v[0:1], v[6:7]
	s_delay_alu instid0(VALU_DEP_1) | instskip(NEXT) | instid1(VALU_DEP_1)
	v_mul_f64_e32 v[26:27], v[24:25], v[22:23]
	v_fma_f64 v[2:3], -v[2:3], v[26:27], v[24:25]
	v_mov_b64_e32 v[24:25], 0x3fba6564968915a9
	s_delay_alu instid0(VALU_DEP_2) | instskip(SKIP_1) | instid1(VALU_DEP_2)
	v_div_fmas_f64 v[2:3], v[2:3], v[22:23], v[26:27]
	v_mov_b64_e32 v[26:27], 0x3e928af3fca7ab0c
	v_div_fixup_f64 v[22:23], v[2:3], v[0:1], v[6:7]
	v_mov_b64_e32 v[6:7], 0xc02399999999999a
	v_mov_b64_e32 v[0:1], 0
	v_mov_b64_e32 v[2:3], 0
	s_branch .LBB1_6
.LBB1_3:                                ;   in Loop: Header=BB1_6 Depth=1
	s_or_b32 exec_lo, exec_lo, s0
	s_delay_alu instid0(VALU_DEP_1)
	v_mul_f64_e32 v[38:39], v[36:37], v[38:39]
.LBB1_4:                                ;   in Loop: Header=BB1_6 Depth=1
	s_or_b32 exec_lo, exec_lo, s2
	s_delay_alu instid0(VALU_DEP_1) | instskip(NEXT) | instid1(VALU_DEP_1)
	v_mul_f64_e32 v[36:37], s[10:11], v[38:39]
	v_fmac_f64_e32 v[46:47], v[32:33], v[36:37]
	v_fmac_f64_e32 v[44:45], v[30:31], v[36:37]
	;; [unrolled: 1-line block ×3, first 2 shown]
	s_delay_alu instid0(VALU_DEP_3) | instskip(NEXT) | instid1(VALU_DEP_3)
	v_add_f64_e32 v[0:1], v[0:1], v[46:47]
	v_add_f64_e32 v[2:3], v[2:3], v[44:45]
	s_delay_alu instid0(VALU_DEP_3)
	v_add_f64_e32 v[6:7], v[6:7], v[42:43]
.LBB1_5:                                ;   in Loop: Header=BB1_6 Depth=1
	s_or_b32 exec_lo, exec_lo, s40
	s_add_co_i32 s33, s33, -1
	s_add_nc_u64 s[22:23], s[22:23], 0x70
	s_cmp_eq_u32 s33, 0
	s_cbranch_scc1 .LBB1_33
.LBB1_6:                                ; =>This Inner Loop Header: Depth=1
	v_sub_co_u32 v54, s0, v54, 1
	s_xor_b32 s0, s0, -1
	s_wait_xcnt 0x0
	s_and_saveexec_b32 s40, s0
	s_cbranch_execz .LBB1_5
; %bb.7:                                ;   in Loop: Header=BB1_6 Depth=1
	s_load_b512 s[4:19], s[22:23], 0x0
	s_wait_loadcnt 0x2
	s_wait_kmcnt 0x0
	v_add_f64_e64 v[30:31], v[10:11], -s[10:11]
	v_add_f64_e64 v[32:33], v[8:9], -s[8:9]
	s_wait_loadcnt 0x0
	v_add_f64_e64 v[34:35], v[16:17], -s[12:13]
	s_clause 0x3
	s_load_b64 s[12:13], s[20:21], 0x18
	s_load_b64 s[36:37], s[20:21], 0x8
	s_load_b128 s[8:11], s[20:21], 0x30
	s_load_b64 s[38:39], s[20:21], 0x40
	s_wait_kmcnt 0x0
	v_mul_f64_e64 v[46:47], s[12:13], s[24:25]
	s_delay_alu instid0(VALU_DEP_4) | instskip(NEXT) | instid1(VALU_DEP_1)
	v_mul_f64_e32 v[38:39], v[30:31], v[30:31]
	v_fmac_f64_e32 v[38:39], v[32:33], v[32:33]
	s_delay_alu instid0(VALU_DEP_1) | instskip(NEXT) | instid1(VALU_DEP_1)
	v_fmac_f64_e32 v[38:39], v[34:35], v[34:35]
	v_cmp_gt_f64_e32 vcc_lo, 0x10000000, v[38:39]
	v_cndmask_b32_e64 v29, 0, 0x100, vcc_lo
	s_delay_alu instid0(VALU_DEP_1) | instskip(SKIP_1) | instid1(VALU_DEP_2)
	v_ldexp_f64 v[36:37], v[38:39], v29
	v_cndmask_b32_e64 v29, 0, 0xffffff80, vcc_lo
	v_rsq_f64_e32 v[40:41], v[36:37]
	v_cmp_class_f64_e64 vcc_lo, v[36:37], 0x260
	s_delay_alu instid0(TRANS32_DEP_1) | instskip(SKIP_1) | instid1(VALU_DEP_1)
	v_mul_f64_e32 v[42:43], v[36:37], v[40:41]
	v_mul_f64_e32 v[40:41], 0.5, v[40:41]
	v_fma_f64 v[44:45], -v[40:41], v[42:43], 0.5
	s_delay_alu instid0(VALU_DEP_1) | instskip(SKIP_1) | instid1(VALU_DEP_2)
	v_fmac_f64_e32 v[42:43], v[42:43], v[44:45]
	v_fmac_f64_e32 v[40:41], v[40:41], v[44:45]
	v_fma_f64 v[44:45], -v[42:43], v[42:43], v[36:37]
	s_delay_alu instid0(VALU_DEP_1) | instskip(NEXT) | instid1(VALU_DEP_1)
	v_fmac_f64_e32 v[42:43], v[44:45], v[40:41]
	v_fma_f64 v[44:45], -v[42:43], v[42:43], v[36:37]
	s_delay_alu instid0(VALU_DEP_1) | instskip(NEXT) | instid1(VALU_DEP_1)
	v_fmac_f64_e32 v[42:43], v[44:45], v[40:41]
	v_ldexp_f64 v[42:43], v[42:43], v29
	s_delay_alu instid0(VALU_DEP_1) | instskip(NEXT) | instid1(VALU_DEP_1)
	v_dual_mul_f64 v[40:41], s[12:13], v[46:47] :: v_dual_cndmask_b32 v49, v43, v37, vcc_lo
	v_mul_f64_e32 v[44:45], s[12:13], v[40:41]
	s_delay_alu instid0(VALU_DEP_3) | instskip(NEXT) | instid1(VALU_DEP_1)
	v_cndmask_b32_e32 v48, v42, v36, vcc_lo
	v_div_scale_f64 v[40:41], null, s[12:13], s[12:13], v[48:49]
	s_delay_alu instid0(VALU_DEP_3) | instskip(SKIP_1) | instid1(VALU_DEP_3)
	v_div_scale_f64 v[36:37], null, v[44:45], v[44:45], 1.0
	v_div_scale_f64 v[56:57], vcc_lo, 1.0, v[44:45], 1.0
	v_rcp_f64_e32 v[46:47], v[40:41]
	s_delay_alu instid0(VALU_DEP_2) | instskip(NEXT) | instid1(TRANS32_DEP_2)
	v_rcp_f64_e32 v[42:43], v[36:37]
	v_fma_f64 v[52:53], -v[40:41], v[46:47], 1.0
	s_delay_alu instid0(TRANS32_DEP_1) | instskip(NEXT) | instid1(VALU_DEP_2)
	v_fma_f64 v[50:51], -v[36:37], v[42:43], 1.0
	v_fmac_f64_e32 v[46:47], v[46:47], v[52:53]
	s_delay_alu instid0(VALU_DEP_2) | instskip(NEXT) | instid1(VALU_DEP_2)
	v_fmac_f64_e32 v[42:43], v[42:43], v[50:51]
	v_fma_f64 v[52:53], -v[40:41], v[46:47], 1.0
	s_delay_alu instid0(VALU_DEP_2) | instskip(NEXT) | instid1(VALU_DEP_2)
	v_fma_f64 v[50:51], -v[36:37], v[42:43], 1.0
	v_fmac_f64_e32 v[46:47], v[46:47], v[52:53]
	s_delay_alu instid0(VALU_DEP_2) | instskip(NEXT) | instid1(VALU_DEP_1)
	v_fmac_f64_e32 v[42:43], v[42:43], v[50:51]
	v_mul_f64_e32 v[52:53], v[56:57], v[42:43]
	v_div_scale_f64 v[50:51], s0, v[48:49], s[12:13], v[48:49]
	s_delay_alu instid0(VALU_DEP_2) | instskip(NEXT) | instid1(VALU_DEP_2)
	v_fma_f64 v[36:37], -v[36:37], v[52:53], v[56:57]
	v_mul_f64_e32 v[58:59], v[50:51], v[46:47]
	s_delay_alu instid0(VALU_DEP_2) | instskip(NEXT) | instid1(VALU_DEP_2)
	v_div_fmas_f64 v[36:37], v[36:37], v[42:43], v[52:53]
	v_fma_f64 v[40:41], -v[40:41], v[58:59], v[50:51]
	s_mov_b32 vcc_lo, s0
	v_mov_b64_e32 v[42:43], 0
	s_delay_alu instid0(VALU_DEP_3) | instskip(NEXT) | instid1(VALU_DEP_3)
	v_div_fixup_f64 v[36:37], v[36:37], v[44:45], 1.0
	v_div_fmas_f64 v[40:41], v[40:41], v[46:47], v[58:59]
	s_delay_alu instid0(VALU_DEP_1) | instskip(NEXT) | instid1(VALU_DEP_1)
	v_div_fixup_f64 v[40:41], v[40:41], s[12:13], v[48:49]
	v_cmp_nle_f64_e64 s0, 2.0, v[40:41]
	s_and_saveexec_b32 s41, s0
	s_cbranch_execz .LBB1_15
; %bb.8:                                ;   in Loop: Header=BB1_6 Depth=1
                                        ; implicit-def: $vgpr42_vgpr43
	s_mov_b32 s1, exec_lo
	v_cmpx_ngt_f64_e32 1.0, v[40:41]
	s_xor_b32 s42, exec_lo, s1
	s_cbranch_execz .LBB1_12
; %bb.9:                                ;   in Loop: Header=BB1_6 Depth=1
	v_cmp_le_f64_e32 vcc_lo, 1.0, v[40:41]
	v_cmp_gt_f64_e64 s1, 2.0, v[40:41]
	v_mov_b64_e32 v[42:43], 0
	s_and_b32 s1, vcc_lo, s1
	s_delay_alu instid0(SALU_CYCLE_1)
	s_and_saveexec_b32 s43, s1
	s_cbranch_execz .LBB1_11
; %bb.10:                               ;   in Loop: Header=BB1_6 Depth=1
	v_add_f64_e64 v[42:43], -v[40:41], 2.0
	s_delay_alu instid0(VALU_DEP_1) | instskip(NEXT) | instid1(VALU_DEP_1)
	v_frexp_mant_f64_e64 v[44:45], |v[42:43]|
	v_cmp_gt_f64_e32 vcc_lo, s[26:27], v[44:45]
	v_cndmask_b32_e64 v29, 0, 1, vcc_lo
	s_delay_alu instid0(VALU_DEP_1) | instskip(SKIP_1) | instid1(VALU_DEP_2)
	v_ldexp_f64 v[44:45], v[44:45], v29
	v_frexp_exp_i32_f64_e32 v29, v[42:43]
	v_add_f64_e32 v[46:47], 1.0, v[44:45]
	v_add_f64_e32 v[56:57], -1.0, v[44:45]
	s_delay_alu instid0(VALU_DEP_3) | instskip(SKIP_1) | instid1(VALU_DEP_4)
	v_subrev_co_ci_u32_e64 v29, null, 0, v29, vcc_lo
	v_cmp_eq_f64_e32 vcc_lo, 1.0, v[42:43]
	v_rcp_f64_e32 v[50:51], v[46:47]
	v_add_f64_e32 v[58:59], -1.0, v[46:47]
	s_delay_alu instid0(VALU_DEP_1) | instskip(NEXT) | instid1(TRANS32_DEP_1)
	v_add_f64_e64 v[44:45], v[44:45], -v[58:59]
	v_fma_f64 v[52:53], -v[46:47], v[50:51], 1.0
	s_delay_alu instid0(VALU_DEP_1) | instskip(NEXT) | instid1(VALU_DEP_1)
	v_fmac_f64_e32 v[50:51], v[52:53], v[50:51]
	v_fma_f64 v[52:53], -v[46:47], v[50:51], 1.0
	s_delay_alu instid0(VALU_DEP_1) | instskip(NEXT) | instid1(VALU_DEP_1)
	v_fmac_f64_e32 v[50:51], v[52:53], v[50:51]
	v_mul_f64_e32 v[52:53], v[56:57], v[50:51]
	s_delay_alu instid0(VALU_DEP_1) | instskip(NEXT) | instid1(VALU_DEP_1)
	v_mul_f64_e32 v[60:61], v[46:47], v[52:53]
	v_fma_f64 v[46:47], v[52:53], v[46:47], -v[60:61]
	s_delay_alu instid0(VALU_DEP_1) | instskip(NEXT) | instid1(VALU_DEP_1)
	v_fmac_f64_e32 v[46:47], v[52:53], v[44:45]
	v_add_f64_e32 v[44:45], v[60:61], v[46:47]
	s_delay_alu instid0(VALU_DEP_1) | instskip(SKIP_1) | instid1(VALU_DEP_2)
	v_add_f64_e64 v[58:59], v[56:57], -v[44:45]
	v_add_f64_e64 v[60:61], v[44:45], -v[60:61]
	;; [unrolled: 1-line block ×3, first 2 shown]
	s_delay_alu instid0(VALU_DEP_2) | instskip(NEXT) | instid1(VALU_DEP_2)
	v_add_f64_e64 v[46:47], v[60:61], -v[46:47]
	v_add_f64_e64 v[44:45], v[56:57], -v[44:45]
	s_delay_alu instid0(VALU_DEP_1) | instskip(NEXT) | instid1(VALU_DEP_1)
	v_add_f64_e32 v[44:45], v[46:47], v[44:45]
	v_add_f64_e32 v[44:45], v[58:59], v[44:45]
	s_delay_alu instid0(VALU_DEP_1) | instskip(NEXT) | instid1(VALU_DEP_1)
	v_mul_f64_e32 v[44:45], v[50:51], v[44:45]
	v_add_f64_e32 v[46:47], v[52:53], v[44:45]
	s_delay_alu instid0(VALU_DEP_1) | instskip(SKIP_1) | instid1(VALU_DEP_2)
	v_add_f64_e64 v[50:51], v[46:47], -v[52:53]
	v_mul_f64_e32 v[52:53], v[46:47], v[46:47]
	v_add_f64_e64 v[44:45], v[44:45], -v[50:51]
	s_delay_alu instid0(VALU_DEP_2) | instskip(NEXT) | instid1(VALU_DEP_2)
	v_fma_f64 v[50:51], v[46:47], v[46:47], -v[52:53]
	v_add_f64_e32 v[56:57], v[44:45], v[44:45]
	s_delay_alu instid0(VALU_DEP_1) | instskip(NEXT) | instid1(VALU_DEP_1)
	v_fmac_f64_e32 v[50:51], v[46:47], v[56:57]
	v_add_f64_e32 v[56:57], v[52:53], v[50:51]
	s_delay_alu instid0(VALU_DEP_1) | instskip(SKIP_2) | instid1(VALU_DEP_3)
	v_fmamk_f64 v[58:59], v[56:57], 0x3fbdee674222de17, v[24:25]
	v_add_f64_e64 v[52:53], v[56:57], -v[52:53]
	v_mul_f64_e32 v[64:65], v[46:47], v[56:57]
	v_fmaak_f64 v[58:59], v[56:57], v[58:59], 0x3fbe25e43abe935a
	s_delay_alu instid0(VALU_DEP_1) | instskip(NEXT) | instid1(VALU_DEP_1)
	v_fmaak_f64 v[58:59], v[56:57], v[58:59], 0x3fc110ef47e6c9c2
	v_fmaak_f64 v[58:59], v[56:57], v[58:59], 0x3fc3b13bcfa74449
	s_delay_alu instid0(VALU_DEP_1) | instskip(SKIP_1) | instid1(VALU_DEP_2)
	v_fmaak_f64 v[58:59], v[56:57], v[58:59], 0x3fc745d171bf3c30
	v_add_f64_e64 v[50:51], v[50:51], -v[52:53]
	v_fmaak_f64 v[58:59], v[56:57], v[58:59], 0x3fcc71c71c7792ce
	s_delay_alu instid0(VALU_DEP_1) | instskip(NEXT) | instid1(VALU_DEP_1)
	v_fmaak_f64 v[58:59], v[56:57], v[58:59], 0x3fd24924924920da
	v_fmaak_f64 v[58:59], v[56:57], v[58:59], 0x3fd999999999999c
	s_delay_alu instid0(VALU_DEP_1) | instskip(NEXT) | instid1(VALU_DEP_1)
	v_mul_f64_e32 v[60:61], v[56:57], v[58:59]
	v_fma_f64 v[52:53], v[56:57], v[58:59], -v[60:61]
	s_delay_alu instid0(VALU_DEP_1) | instskip(NEXT) | instid1(VALU_DEP_1)
	v_fmac_f64_e32 v[52:53], v[50:51], v[58:59]
	v_add_f64_e32 v[58:59], v[60:61], v[52:53]
	s_delay_alu instid0(VALU_DEP_1) | instskip(SKIP_1) | instid1(VALU_DEP_2)
	v_add_f64_e32 v[62:63], 0x3fe5555555555555, v[58:59]
	v_add_f64_e64 v[60:61], v[58:59], -v[60:61]
	v_add_f64_e32 v[66:67], 0xbfe5555555555555, v[62:63]
	s_delay_alu instid0(VALU_DEP_2) | instskip(SKIP_1) | instid1(VALU_DEP_3)
	v_add_f64_e64 v[52:53], v[52:53], -v[60:61]
	v_fma_f64 v[60:61], v[56:57], v[46:47], -v[64:65]
	v_add_f64_e64 v[58:59], v[58:59], -v[66:67]
	s_delay_alu instid0(VALU_DEP_3) | instskip(NEXT) | instid1(VALU_DEP_3)
	v_add_f64_e32 v[52:53], 0x3c8543b0d5df274d, v[52:53]
	v_fmac_f64_e32 v[60:61], v[56:57], v[44:45]
	v_ldexp_f64 v[44:45], v[44:45], 1
	s_delay_alu instid0(VALU_DEP_3) | instskip(NEXT) | instid1(VALU_DEP_3)
	v_add_f64_e32 v[52:53], v[52:53], v[58:59]
	v_fmac_f64_e32 v[60:61], v[50:51], v[46:47]
	v_ldexp_f64 v[46:47], v[46:47], 1
	s_delay_alu instid0(VALU_DEP_3) | instskip(NEXT) | instid1(VALU_DEP_3)
	v_add_f64_e32 v[50:51], v[62:63], v[52:53]
	v_add_f64_e32 v[56:57], v[64:65], v[60:61]
	s_delay_alu instid0(VALU_DEP_2) | instskip(NEXT) | instid1(VALU_DEP_2)
	v_add_f64_e64 v[58:59], v[62:63], -v[50:51]
	v_mul_f64_e32 v[62:63], v[56:57], v[50:51]
	v_add_f64_e64 v[64:65], v[56:57], -v[64:65]
	s_delay_alu instid0(VALU_DEP_3) | instskip(NEXT) | instid1(VALU_DEP_3)
	v_add_f64_e32 v[52:53], v[52:53], v[58:59]
	v_fma_f64 v[58:59], v[56:57], v[50:51], -v[62:63]
	s_delay_alu instid0(VALU_DEP_3) | instskip(NEXT) | instid1(VALU_DEP_2)
	v_add_f64_e64 v[60:61], v[60:61], -v[64:65]
	v_fmac_f64_e32 v[58:59], v[56:57], v[52:53]
	v_cvt_f64_i32_e32 v[52:53], v29
	v_cndmask_b32_e64 v29, 2.0, 0x3ff00000, vcc_lo
	s_delay_alu instid0(VALU_DEP_3) | instskip(NEXT) | instid1(VALU_DEP_1)
	v_fmac_f64_e32 v[58:59], v[60:61], v[50:51]
	v_add_f64_e32 v[50:51], v[62:63], v[58:59]
	s_delay_alu instid0(VALU_DEP_1) | instskip(SKIP_2) | instid1(VALU_DEP_3)
	v_add_f64_e32 v[56:57], v[46:47], v[50:51]
	v_add_f64_e64 v[60:61], v[50:51], -v[62:63]
	v_mul_f64_e32 v[62:63], 0x3fe62e42fefa39ef, v[52:53]
	v_add_f64_e64 v[46:47], v[56:57], -v[46:47]
	s_delay_alu instid0(VALU_DEP_3) | instskip(NEXT) | instid1(VALU_DEP_3)
	v_add_f64_e64 v[58:59], v[58:59], -v[60:61]
	v_fma_f64 v[60:61], v[52:53], s[28:29], -v[62:63]
	s_delay_alu instid0(VALU_DEP_3) | instskip(NEXT) | instid1(VALU_DEP_3)
	v_add_f64_e64 v[46:47], v[50:51], -v[46:47]
	v_add_f64_e32 v[44:45], v[44:45], v[58:59]
	s_delay_alu instid0(VALU_DEP_3) | instskip(NEXT) | instid1(VALU_DEP_2)
	v_fmac_f64_e32 v[60:61], 0x3c7abc9e3b39803f, v[52:53]
	v_add_f64_e32 v[44:45], v[44:45], v[46:47]
	s_delay_alu instid0(VALU_DEP_2) | instskip(NEXT) | instid1(VALU_DEP_2)
	v_add_f64_e32 v[46:47], v[62:63], v[60:61]
	v_add_f64_e32 v[50:51], v[56:57], v[44:45]
	s_delay_alu instid0(VALU_DEP_2) | instskip(NEXT) | instid1(VALU_DEP_2)
	v_add_f64_e64 v[62:63], v[46:47], -v[62:63]
	v_add_f64_e32 v[52:53], v[46:47], v[50:51]
	v_add_f64_e64 v[56:57], v[50:51], -v[56:57]
	s_delay_alu instid0(VALU_DEP_3) | instskip(NEXT) | instid1(VALU_DEP_3)
	v_add_f64_e64 v[60:61], v[60:61], -v[62:63]
	v_add_f64_e64 v[58:59], v[52:53], -v[46:47]
	s_delay_alu instid0(VALU_DEP_3) | instskip(NEXT) | instid1(VALU_DEP_2)
	v_add_f64_e64 v[44:45], v[44:45], -v[56:57]
	v_add_f64_e64 v[64:65], v[52:53], -v[58:59]
	;; [unrolled: 1-line block ×3, first 2 shown]
	s_delay_alu instid0(VALU_DEP_3) | instskip(NEXT) | instid1(VALU_DEP_3)
	v_add_f64_e32 v[56:57], v[60:61], v[44:45]
	v_add_f64_e64 v[46:47], v[46:47], -v[64:65]
	s_delay_alu instid0(VALU_DEP_1) | instskip(NEXT) | instid1(VALU_DEP_3)
	v_add_f64_e32 v[46:47], v[50:51], v[46:47]
	v_add_f64_e64 v[50:51], v[56:57], -v[60:61]
	s_delay_alu instid0(VALU_DEP_2) | instskip(NEXT) | instid1(VALU_DEP_2)
	v_add_f64_e32 v[46:47], v[56:57], v[46:47]
	v_add_f64_e64 v[56:57], v[56:57], -v[50:51]
	v_add_f64_e64 v[44:45], v[44:45], -v[50:51]
	s_delay_alu instid0(VALU_DEP_3) | instskip(NEXT) | instid1(VALU_DEP_3)
	v_add_f64_e32 v[58:59], v[52:53], v[46:47]
	v_add_f64_e64 v[50:51], v[60:61], -v[56:57]
	s_delay_alu instid0(VALU_DEP_2) | instskip(NEXT) | instid1(VALU_DEP_2)
	v_add_f64_e64 v[52:53], v[58:59], -v[52:53]
	v_add_f64_e32 v[44:45], v[44:45], v[50:51]
	s_delay_alu instid0(VALU_DEP_2) | instskip(NEXT) | instid1(VALU_DEP_1)
	v_add_f64_e64 v[46:47], v[46:47], -v[52:53]
	v_add_f64_e32 v[44:45], v[44:45], v[46:47]
	s_delay_alu instid0(VALU_DEP_1) | instskip(NEXT) | instid1(VALU_DEP_1)
	v_add_f64_e32 v[46:47], v[58:59], v[44:45]
	v_add_f64_e64 v[50:51], v[46:47], -v[58:59]
	v_mul_f64_e32 v[52:53], v[28:29], v[46:47]
	v_mul_f64_e64 v[58:59], s[12:13], 4.0
	s_delay_alu instid0(VALU_DEP_3) | instskip(NEXT) | instid1(VALU_DEP_3)
	v_add_f64_e64 v[44:45], v[44:45], -v[50:51]
	v_fma_f64 v[46:47], v[28:29], v[46:47], -v[52:53]
	v_cmp_class_f64_e64 vcc_lo, v[52:53], 0x204
	s_delay_alu instid0(VALU_DEP_4) | instskip(NEXT) | instid1(VALU_DEP_3)
	v_mul_f64_e32 v[58:59], v[48:49], v[58:59]
	v_fmac_f64_e32 v[46:47], v[28:29], v[44:45]
	s_delay_alu instid0(VALU_DEP_2) | instskip(NEXT) | instid1(VALU_DEP_2)
	v_div_scale_f64 v[62:63], null, v[58:59], v[58:59], 0xc0080000
	v_add_f64_e32 v[44:45], v[52:53], v[46:47]
	s_delay_alu instid0(VALU_DEP_2) | instskip(NEXT) | instid1(VALU_DEP_1)
	v_rcp_f64_e32 v[66:67], v[62:63]
	v_dual_cndmask_b32 v51, v45, v53 :: v_dual_cndmask_b32 v50, v44, v52
	v_add_f64_e64 v[44:45], v[44:45], -v[52:53]
	s_delay_alu instid0(VALU_DEP_2) | instskip(SKIP_1) | instid1(TRANS32_DEP_1)
	v_mul_f64_e32 v[56:57], 0x3ff71547652b82fe, v[50:51]
	v_cmp_neq_f64_e64 s1, 0x7ff00000, |v[50:51]|
	v_fma_f64 v[68:69], -v[62:63], v[66:67], 1.0
	v_cmp_nlt_f64_e64 s2, 0x40900000, v[50:51]
	v_cmp_ngt_f64_e64 s3, 0xc090cc00, v[50:51]
	v_add_f64_e64 v[44:45], v[46:47], -v[44:45]
	v_mul_f64_e32 v[46:47], 0.5, v[28:29]
	v_rndne_f64_e32 v[56:57], v[56:57]
	v_fmac_f64_e32 v[66:67], v[66:67], v[68:69]
	s_delay_alu instid0(VALU_DEP_4) | instskip(SKIP_1) | instid1(VALU_DEP_3)
	v_dual_cndmask_b32 v45, 0, v45, s1 :: v_dual_cndmask_b32 v44, 0, v44, s1
	s_and_b32 s1, s3, s2
	v_fmamk_f64 v[60:61], v[56:57], 0xbfe62e42fefa39ef, v[50:51]
	v_cvt_i32_f64_e32 v68, v[56:57]
	s_delay_alu instid0(VALU_DEP_2) | instskip(NEXT) | instid1(VALU_DEP_1)
	v_fmac_f64_e32 v[60:61], 0xbc7abc9e3b39803f, v[56:57]
	v_fmamk_f64 v[64:65], v[60:61], 0x3e5ade156a5dcb37, v[26:27]
	s_delay_alu instid0(VALU_DEP_1) | instskip(NEXT) | instid1(VALU_DEP_1)
	v_fmaak_f64 v[64:65], v[60:61], v[64:65], 0x3ec71dee623fde64
	v_fmaak_f64 v[64:65], v[60:61], v[64:65], 0x3efa01997c89e6b0
	s_delay_alu instid0(VALU_DEP_1) | instskip(NEXT) | instid1(VALU_DEP_1)
	v_fmaak_f64 v[64:65], v[60:61], v[64:65], 0x3f2a01a014761f6e
	v_fmaak_f64 v[64:65], v[60:61], v[64:65], 0x3f56c16c1852b7b0
	;; [unrolled: 3-line block ×4, first 2 shown]
	s_delay_alu instid0(VALU_DEP_1) | instskip(NEXT) | instid1(VALU_DEP_1)
	v_fma_f64 v[64:65], v[60:61], v[64:65], 1.0
	v_fma_f64 v[56:57], v[60:61], v[64:65], 1.0
	v_fma_f64 v[60:61], -v[62:63], v[66:67], 1.0
	v_trunc_f64_e32 v[64:65], v[28:29]
	s_delay_alu instid0(VALU_DEP_3) | instskip(SKIP_1) | instid1(VALU_DEP_4)
	v_ldexp_f64 v[52:53], v[56:57], v68
	v_div_scale_f64 v[56:57], vcc_lo, 0xc0080000, v[58:59], 0xc0080000
	v_fmac_f64_e32 v[66:67], v[66:67], v[60:61]
	v_trunc_f64_e32 v[60:61], v[46:47]
	s_delay_alu instid0(VALU_DEP_4) | instskip(NEXT) | instid1(VALU_DEP_3)
	v_cndmask_b32_e64 v53, 0x7ff00000, v53, s2
	v_dual_mul_f64 v[50:51], v[56:57], v[66:67] :: v_dual_cndmask_b32 v52, 0, v52, s1
	s_delay_alu instid0(VALU_DEP_3) | instskip(NEXT) | instid1(VALU_DEP_3)
	v_cmp_neq_f64_e64 s1, v[60:61], v[46:47]
	v_cndmask_b32_e64 v53, 0, v53, s3
	v_cmp_eq_f64_e64 s3, v[64:65], v[28:29]
	s_delay_alu instid0(VALU_DEP_2) | instskip(SKIP_1) | instid1(VALU_DEP_1)
	v_fma_f64 v[44:45], v[52:53], v[44:45], v[52:53]
	v_cmp_class_f64_e64 s2, v[52:53], 0x204
	v_dual_fma_f64 v[56:57], -v[62:63], v[50:51], v[56:57] :: v_dual_cndmask_b32 v52, v44, v52, s2
	s_delay_alu instid0(VALU_DEP_3) | instskip(SKIP_1) | instid1(VALU_DEP_3)
	v_cndmask_b32_e64 v29, v45, v53, s2
	v_cmp_eq_f64_e64 s2, 0, v[42:43]
	v_div_fmas_f64 v[46:47], v[56:57], v[66:67], v[50:51]
	s_and_b32 vcc_lo, s3, s1
	v_cmp_gt_f64_e64 s1, 0, v[42:43]
	v_cndmask_b32_e32 v44, 0x3ff00000, v43, vcc_lo
	v_cndmask_b32_e64 v50, 0, v52, s3
	s_delay_alu instid0(VALU_DEP_2) | instskip(NEXT) | instid1(VALU_DEP_1)
	v_bfi_b32 v29, 0x7fffffff, v29, v44
	v_cndmask_b32_e64 v51, 0x7ff80000, v29, s3
	v_cmp_class_f64_e64 s3, v[42:43], 0x204
	v_cndmask_b32_e64 v42, 0x7ff00000, 0, s2
	v_cndmask_b32_e32 v43, 0, v43, vcc_lo
	s_delay_alu instid0(VALU_DEP_1)
	v_bfi_b32 v43, 0x7fffffff, v42, v43
	v_div_fixup_f64 v[44:45], v[46:47], v[58:59], 0xc0080000
	v_dual_cndmask_b32 v29, v29, v51, s1 :: v_dual_cndmask_b32 v46, v52, v50, s1
	s_or_b32 vcc_lo, s2, s3
	s_delay_alu instid0(VALU_DEP_1) | instid1(SALU_CYCLE_1)
	v_cndmask_b32_e64 v42, v46, 0, vcc_lo
	s_delay_alu instid0(VALU_DEP_2) | instskip(NEXT) | instid1(VALU_DEP_1)
	v_cndmask_b32_e32 v43, v29, v43, vcc_lo
	v_mul_f64_e32 v[42:43], v[44:45], v[42:43]
.LBB1_11:                               ;   in Loop: Header=BB1_6 Depth=1
	s_or_b32 exec_lo, exec_lo, s43
.LBB1_12:                               ;   in Loop: Header=BB1_6 Depth=1
	s_and_not1_saveexec_b32 s1, s42
	s_cbranch_execz .LBB1_14
; %bb.13:                               ;   in Loop: Header=BB1_6 Depth=1
	v_mul_f64_e64 v[42:43], s[12:13], s[12:13]
	s_delay_alu instid0(VALU_DEP_1) | instskip(SKIP_1) | instid1(VALU_DEP_2)
	v_div_scale_f64 v[44:45], null, v[42:43], v[42:43], -1.0
	v_div_scale_f64 v[52:53], vcc_lo, -1.0, v[42:43], -1.0
	v_rcp_f64_e32 v[46:47], v[44:45]
	v_nop
	s_delay_alu instid0(TRANS32_DEP_1) | instskip(NEXT) | instid1(VALU_DEP_1)
	v_fma_f64 v[50:51], -v[44:45], v[46:47], 1.0
	v_fmac_f64_e32 v[46:47], v[46:47], v[50:51]
	s_delay_alu instid0(VALU_DEP_1) | instskip(NEXT) | instid1(VALU_DEP_1)
	v_fma_f64 v[50:51], -v[44:45], v[46:47], 1.0
	v_fmac_f64_e32 v[46:47], v[46:47], v[50:51]
	s_delay_alu instid0(VALU_DEP_1) | instskip(NEXT) | instid1(VALU_DEP_1)
	v_mul_f64_e32 v[50:51], v[52:53], v[46:47]
	v_fma_f64 v[44:45], -v[44:45], v[50:51], v[52:53]
	s_delay_alu instid0(VALU_DEP_1) | instskip(NEXT) | instid1(VALU_DEP_1)
	v_div_fmas_f64 v[44:45], v[44:45], v[46:47], v[50:51]
	v_div_fixup_f64 v[42:43], v[44:45], v[42:43], -1.0
	v_fmaak_f64 v[44:45], s[30:31], v[40:41], 0x40080000
	s_delay_alu instid0(VALU_DEP_1)
	v_mul_f64_e32 v[42:43], v[42:43], v[44:45]
.LBB1_14:                               ;   in Loop: Header=BB1_6 Depth=1
	s_or_b32 exec_lo, exec_lo, s1
	s_delay_alu instid0(VALU_DEP_1)
	v_mul_f64_e32 v[42:43], v[36:37], v[42:43]
.LBB1_15:                               ;   in Loop: Header=BB1_6 Depth=1
	s_or_b32 exec_lo, exec_lo, s41
	v_mul_f64_e64 v[44:45], s[4:5], s[4:5]
	s_delay_alu instid0(VALU_DEP_1) | instskip(SKIP_1) | instid1(VALU_DEP_2)
	v_div_scale_f64 v[46:47], null, v[44:45], v[44:45], s[6:7]
	v_div_scale_f64 v[56:57], vcc_lo, s[6:7], v[44:45], s[6:7]
	v_rcp_f64_e32 v[50:51], v[46:47]
	v_nop
	s_delay_alu instid0(TRANS32_DEP_1) | instskip(NEXT) | instid1(VALU_DEP_1)
	v_fma_f64 v[52:53], -v[46:47], v[50:51], 1.0
	v_fmac_f64_e32 v[50:51], v[50:51], v[52:53]
	s_delay_alu instid0(VALU_DEP_1) | instskip(NEXT) | instid1(VALU_DEP_1)
	v_fma_f64 v[52:53], -v[46:47], v[50:51], 1.0
	v_fmac_f64_e32 v[50:51], v[50:51], v[52:53]
	s_delay_alu instid0(VALU_DEP_1) | instskip(NEXT) | instid1(VALU_DEP_1)
	v_mul_f64_e32 v[52:53], v[56:57], v[50:51]
	v_fma_f64 v[46:47], -v[46:47], v[52:53], v[56:57]
	s_delay_alu instid0(VALU_DEP_1) | instskip(SKIP_1) | instid1(VALU_DEP_2)
	v_div_fmas_f64 v[46:47], v[46:47], v[50:51], v[52:53]
	v_add_f64_e64 v[52:53], v[18:19], -s[14:15]
	v_div_fixup_f64 v[44:45], v[46:47], v[44:45], s[6:7]
	v_add_f64_e64 v[46:47], v[12:13], -s[16:17]
	s_mov_b32 s6, exec_lo
	s_delay_alu instid0(VALU_DEP_2) | instskip(NEXT) | instid1(VALU_DEP_2)
	v_add_f64_e32 v[44:45], v[22:23], v[44:45]
	v_mul_f64_e32 v[50:51], v[30:31], v[46:47]
	v_add_f64_e64 v[46:47], v[14:15], -s[18:19]
	s_delay_alu instid0(VALU_DEP_3) | instskip(NEXT) | instid1(VALU_DEP_3)
	v_mul_f64_e32 v[44:45], s[36:37], v[44:45]
	v_fmac_f64_e32 v[50:51], v[32:33], v[52:53]
	s_delay_alu instid0(VALU_DEP_2) | instskip(NEXT) | instid1(VALU_DEP_2)
	v_mul_f64_e64 v[42:43], v[44:45], -v[42:43]
	v_fmac_f64_e32 v[50:51], v[34:35], v[46:47]
	s_delay_alu instid0(VALU_DEP_2) | instskip(SKIP_2) | instid1(VALU_DEP_4)
	v_mul_f64_e32 v[46:47], v[32:33], v[42:43]
	v_mul_f64_e32 v[44:45], v[30:31], v[42:43]
	;; [unrolled: 1-line block ×3, first 2 shown]
	v_cmpx_gt_f64_e32 0, v[50:51]
	s_cbranch_execz .LBB1_25
; %bb.16:                               ;   in Loop: Header=BB1_6 Depth=1
	v_mov_b64_e32 v[52:53], 0
	s_and_saveexec_b32 s7, s0
	s_cbranch_execz .LBB1_24
; %bb.17:                               ;   in Loop: Header=BB1_6 Depth=1
                                        ; implicit-def: $vgpr52_vgpr53
	s_mov_b32 s1, exec_lo
	v_cmpx_ngt_f64_e32 1.0, v[40:41]
	s_xor_b32 s14, exec_lo, s1
	s_cbranch_execz .LBB1_21
; %bb.18:                               ;   in Loop: Header=BB1_6 Depth=1
	v_cmp_le_f64_e32 vcc_lo, 1.0, v[40:41]
	v_cmp_gt_f64_e64 s1, 2.0, v[40:41]
	v_mov_b64_e32 v[52:53], 0
	s_and_b32 s1, vcc_lo, s1
	s_delay_alu instid0(SALU_CYCLE_1)
	s_and_saveexec_b32 s15, s1
	s_cbranch_execz .LBB1_20
; %bb.19:                               ;   in Loop: Header=BB1_6 Depth=1
	v_add_f64_e64 v[52:53], -v[40:41], 2.0
	s_delay_alu instid0(VALU_DEP_1) | instskip(NEXT) | instid1(VALU_DEP_1)
	v_frexp_mant_f64_e64 v[56:57], |v[52:53]|
	v_cmp_gt_f64_e32 vcc_lo, s[26:27], v[56:57]
	v_cndmask_b32_e64 v29, 0, 1, vcc_lo
	s_delay_alu instid0(VALU_DEP_1) | instskip(SKIP_1) | instid1(VALU_DEP_2)
	v_ldexp_f64 v[56:57], v[56:57], v29
	v_frexp_exp_i32_f64_e32 v29, v[52:53]
	v_add_f64_e32 v[58:59], 1.0, v[56:57]
	v_add_f64_e32 v[64:65], -1.0, v[56:57]
	s_delay_alu instid0(VALU_DEP_3) | instskip(SKIP_1) | instid1(VALU_DEP_4)
	v_subrev_co_ci_u32_e64 v29, null, 0, v29, vcc_lo
	v_cmp_eq_f64_e32 vcc_lo, 1.0, v[52:53]
	v_rcp_f64_e32 v[60:61], v[58:59]
	v_add_f64_e32 v[66:67], -1.0, v[58:59]
	s_delay_alu instid0(VALU_DEP_1) | instskip(NEXT) | instid1(TRANS32_DEP_1)
	v_add_f64_e64 v[56:57], v[56:57], -v[66:67]
	v_fma_f64 v[62:63], -v[58:59], v[60:61], 1.0
	s_delay_alu instid0(VALU_DEP_1) | instskip(NEXT) | instid1(VALU_DEP_1)
	v_fmac_f64_e32 v[60:61], v[62:63], v[60:61]
	v_fma_f64 v[62:63], -v[58:59], v[60:61], 1.0
	s_delay_alu instid0(VALU_DEP_1) | instskip(NEXT) | instid1(VALU_DEP_1)
	v_fmac_f64_e32 v[60:61], v[62:63], v[60:61]
	v_mul_f64_e32 v[62:63], v[64:65], v[60:61]
	s_delay_alu instid0(VALU_DEP_1) | instskip(NEXT) | instid1(VALU_DEP_1)
	v_mul_f64_e32 v[68:69], v[58:59], v[62:63]
	v_fma_f64 v[58:59], v[62:63], v[58:59], -v[68:69]
	s_delay_alu instid0(VALU_DEP_1) | instskip(NEXT) | instid1(VALU_DEP_1)
	v_fmac_f64_e32 v[58:59], v[62:63], v[56:57]
	v_add_f64_e32 v[56:57], v[68:69], v[58:59]
	s_delay_alu instid0(VALU_DEP_1) | instskip(SKIP_1) | instid1(VALU_DEP_2)
	v_add_f64_e64 v[66:67], v[64:65], -v[56:57]
	v_add_f64_e64 v[68:69], v[56:57], -v[68:69]
	;; [unrolled: 1-line block ×3, first 2 shown]
	s_delay_alu instid0(VALU_DEP_2) | instskip(NEXT) | instid1(VALU_DEP_2)
	v_add_f64_e64 v[58:59], v[68:69], -v[58:59]
	v_add_f64_e64 v[56:57], v[64:65], -v[56:57]
	s_delay_alu instid0(VALU_DEP_1) | instskip(NEXT) | instid1(VALU_DEP_1)
	v_add_f64_e32 v[56:57], v[58:59], v[56:57]
	v_add_f64_e32 v[56:57], v[66:67], v[56:57]
	s_delay_alu instid0(VALU_DEP_1) | instskip(NEXT) | instid1(VALU_DEP_1)
	v_mul_f64_e32 v[56:57], v[60:61], v[56:57]
	v_add_f64_e32 v[58:59], v[62:63], v[56:57]
	s_delay_alu instid0(VALU_DEP_1) | instskip(SKIP_1) | instid1(VALU_DEP_2)
	v_add_f64_e64 v[60:61], v[58:59], -v[62:63]
	v_mul_f64_e32 v[62:63], v[58:59], v[58:59]
	v_add_f64_e64 v[56:57], v[56:57], -v[60:61]
	s_delay_alu instid0(VALU_DEP_2) | instskip(NEXT) | instid1(VALU_DEP_2)
	v_fma_f64 v[60:61], v[58:59], v[58:59], -v[62:63]
	v_add_f64_e32 v[64:65], v[56:57], v[56:57]
	s_delay_alu instid0(VALU_DEP_1) | instskip(NEXT) | instid1(VALU_DEP_1)
	v_fmac_f64_e32 v[60:61], v[58:59], v[64:65]
	v_add_f64_e32 v[64:65], v[62:63], v[60:61]
	s_delay_alu instid0(VALU_DEP_1) | instskip(SKIP_2) | instid1(VALU_DEP_3)
	v_fmamk_f64 v[66:67], v[64:65], 0x3fbdee674222de17, v[24:25]
	v_add_f64_e64 v[62:63], v[64:65], -v[62:63]
	v_mul_f64_e32 v[72:73], v[58:59], v[64:65]
	v_fmaak_f64 v[66:67], v[64:65], v[66:67], 0x3fbe25e43abe935a
	s_delay_alu instid0(VALU_DEP_1) | instskip(NEXT) | instid1(VALU_DEP_1)
	v_fmaak_f64 v[66:67], v[64:65], v[66:67], 0x3fc110ef47e6c9c2
	v_fmaak_f64 v[66:67], v[64:65], v[66:67], 0x3fc3b13bcfa74449
	s_delay_alu instid0(VALU_DEP_1) | instskip(SKIP_1) | instid1(VALU_DEP_2)
	v_fmaak_f64 v[66:67], v[64:65], v[66:67], 0x3fc745d171bf3c30
	v_add_f64_e64 v[60:61], v[60:61], -v[62:63]
	v_fmaak_f64 v[66:67], v[64:65], v[66:67], 0x3fcc71c71c7792ce
	s_delay_alu instid0(VALU_DEP_1) | instskip(NEXT) | instid1(VALU_DEP_1)
	v_fmaak_f64 v[66:67], v[64:65], v[66:67], 0x3fd24924924920da
	v_fmaak_f64 v[66:67], v[64:65], v[66:67], 0x3fd999999999999c
	s_delay_alu instid0(VALU_DEP_1) | instskip(NEXT) | instid1(VALU_DEP_1)
	v_mul_f64_e32 v[68:69], v[64:65], v[66:67]
	v_fma_f64 v[62:63], v[64:65], v[66:67], -v[68:69]
	s_delay_alu instid0(VALU_DEP_1) | instskip(NEXT) | instid1(VALU_DEP_1)
	v_fmac_f64_e32 v[62:63], v[60:61], v[66:67]
	v_add_f64_e32 v[66:67], v[68:69], v[62:63]
	s_delay_alu instid0(VALU_DEP_1) | instskip(SKIP_1) | instid1(VALU_DEP_2)
	v_add_f64_e32 v[70:71], 0x3fe5555555555555, v[66:67]
	v_add_f64_e64 v[68:69], v[66:67], -v[68:69]
	v_add_f64_e32 v[74:75], 0xbfe5555555555555, v[70:71]
	s_delay_alu instid0(VALU_DEP_2) | instskip(SKIP_1) | instid1(VALU_DEP_3)
	v_add_f64_e64 v[62:63], v[62:63], -v[68:69]
	v_fma_f64 v[68:69], v[64:65], v[58:59], -v[72:73]
	v_add_f64_e64 v[66:67], v[66:67], -v[74:75]
	s_delay_alu instid0(VALU_DEP_3) | instskip(NEXT) | instid1(VALU_DEP_3)
	v_add_f64_e32 v[62:63], 0x3c8543b0d5df274d, v[62:63]
	v_fmac_f64_e32 v[68:69], v[64:65], v[56:57]
	v_ldexp_f64 v[56:57], v[56:57], 1
	s_delay_alu instid0(VALU_DEP_3) | instskip(NEXT) | instid1(VALU_DEP_3)
	v_add_f64_e32 v[62:63], v[62:63], v[66:67]
	v_fmac_f64_e32 v[68:69], v[60:61], v[58:59]
	v_ldexp_f64 v[58:59], v[58:59], 1
	s_delay_alu instid0(VALU_DEP_3) | instskip(NEXT) | instid1(VALU_DEP_3)
	v_add_f64_e32 v[60:61], v[70:71], v[62:63]
	v_add_f64_e32 v[64:65], v[72:73], v[68:69]
	s_delay_alu instid0(VALU_DEP_2) | instskip(NEXT) | instid1(VALU_DEP_2)
	v_add_f64_e64 v[66:67], v[70:71], -v[60:61]
	v_mul_f64_e32 v[70:71], v[64:65], v[60:61]
	v_add_f64_e64 v[72:73], v[64:65], -v[72:73]
	s_delay_alu instid0(VALU_DEP_3) | instskip(NEXT) | instid1(VALU_DEP_3)
	v_add_f64_e32 v[62:63], v[62:63], v[66:67]
	v_fma_f64 v[66:67], v[64:65], v[60:61], -v[70:71]
	s_delay_alu instid0(VALU_DEP_3) | instskip(NEXT) | instid1(VALU_DEP_2)
	v_add_f64_e64 v[68:69], v[68:69], -v[72:73]
	v_fmac_f64_e32 v[66:67], v[64:65], v[62:63]
	v_cvt_f64_i32_e32 v[62:63], v29
	v_cndmask_b32_e64 v29, 2.0, 0x3ff00000, vcc_lo
	s_delay_alu instid0(VALU_DEP_3) | instskip(NEXT) | instid1(VALU_DEP_1)
	v_fmac_f64_e32 v[66:67], v[68:69], v[60:61]
	v_add_f64_e32 v[60:61], v[70:71], v[66:67]
	s_delay_alu instid0(VALU_DEP_1) | instskip(SKIP_2) | instid1(VALU_DEP_3)
	v_add_f64_e32 v[64:65], v[58:59], v[60:61]
	v_add_f64_e64 v[68:69], v[60:61], -v[70:71]
	v_mul_f64_e32 v[70:71], 0x3fe62e42fefa39ef, v[62:63]
	v_add_f64_e64 v[58:59], v[64:65], -v[58:59]
	s_delay_alu instid0(VALU_DEP_3) | instskip(NEXT) | instid1(VALU_DEP_3)
	v_add_f64_e64 v[66:67], v[66:67], -v[68:69]
	v_fma_f64 v[68:69], v[62:63], s[28:29], -v[70:71]
	s_delay_alu instid0(VALU_DEP_3) | instskip(NEXT) | instid1(VALU_DEP_3)
	v_add_f64_e64 v[58:59], v[60:61], -v[58:59]
	v_add_f64_e32 v[56:57], v[56:57], v[66:67]
	s_delay_alu instid0(VALU_DEP_3) | instskip(NEXT) | instid1(VALU_DEP_2)
	v_fmac_f64_e32 v[68:69], 0x3c7abc9e3b39803f, v[62:63]
	v_add_f64_e32 v[56:57], v[56:57], v[58:59]
	s_delay_alu instid0(VALU_DEP_2) | instskip(NEXT) | instid1(VALU_DEP_2)
	v_add_f64_e32 v[58:59], v[70:71], v[68:69]
	v_add_f64_e32 v[60:61], v[64:65], v[56:57]
	s_delay_alu instid0(VALU_DEP_2) | instskip(NEXT) | instid1(VALU_DEP_2)
	v_add_f64_e64 v[70:71], v[58:59], -v[70:71]
	v_add_f64_e32 v[62:63], v[58:59], v[60:61]
	v_add_f64_e64 v[64:65], v[60:61], -v[64:65]
	s_delay_alu instid0(VALU_DEP_3) | instskip(NEXT) | instid1(VALU_DEP_3)
	v_add_f64_e64 v[68:69], v[68:69], -v[70:71]
	v_add_f64_e64 v[66:67], v[62:63], -v[58:59]
	s_delay_alu instid0(VALU_DEP_3) | instskip(NEXT) | instid1(VALU_DEP_2)
	v_add_f64_e64 v[56:57], v[56:57], -v[64:65]
	v_add_f64_e64 v[72:73], v[62:63], -v[66:67]
	;; [unrolled: 1-line block ×3, first 2 shown]
	s_delay_alu instid0(VALU_DEP_3) | instskip(NEXT) | instid1(VALU_DEP_3)
	v_add_f64_e32 v[64:65], v[68:69], v[56:57]
	v_add_f64_e64 v[58:59], v[58:59], -v[72:73]
	s_delay_alu instid0(VALU_DEP_1) | instskip(NEXT) | instid1(VALU_DEP_3)
	v_add_f64_e32 v[58:59], v[60:61], v[58:59]
	v_add_f64_e64 v[60:61], v[64:65], -v[68:69]
	s_delay_alu instid0(VALU_DEP_2) | instskip(NEXT) | instid1(VALU_DEP_2)
	v_add_f64_e32 v[58:59], v[64:65], v[58:59]
	v_add_f64_e64 v[64:65], v[64:65], -v[60:61]
	v_add_f64_e64 v[56:57], v[56:57], -v[60:61]
	s_delay_alu instid0(VALU_DEP_3) | instskip(NEXT) | instid1(VALU_DEP_3)
	v_add_f64_e32 v[66:67], v[62:63], v[58:59]
	v_add_f64_e64 v[60:61], v[68:69], -v[64:65]
	s_delay_alu instid0(VALU_DEP_2) | instskip(NEXT) | instid1(VALU_DEP_2)
	v_add_f64_e64 v[62:63], v[66:67], -v[62:63]
	v_add_f64_e32 v[56:57], v[56:57], v[60:61]
	s_delay_alu instid0(VALU_DEP_2) | instskip(NEXT) | instid1(VALU_DEP_1)
	v_add_f64_e64 v[58:59], v[58:59], -v[62:63]
	v_add_f64_e32 v[56:57], v[56:57], v[58:59]
	s_delay_alu instid0(VALU_DEP_1) | instskip(NEXT) | instid1(VALU_DEP_1)
	v_add_f64_e32 v[58:59], v[66:67], v[56:57]
	v_add_f64_e64 v[60:61], v[58:59], -v[66:67]
	v_mul_f64_e32 v[62:63], v[28:29], v[58:59]
	v_mul_f64_e64 v[66:67], s[12:13], 4.0
	s_delay_alu instid0(VALU_DEP_3) | instskip(NEXT) | instid1(VALU_DEP_3)
	v_add_f64_e64 v[56:57], v[56:57], -v[60:61]
	v_fma_f64 v[58:59], v[28:29], v[58:59], -v[62:63]
	v_cmp_class_f64_e64 vcc_lo, v[62:63], 0x204
	s_delay_alu instid0(VALU_DEP_4) | instskip(NEXT) | instid1(VALU_DEP_3)
	v_mul_f64_e32 v[48:49], v[48:49], v[66:67]
	v_fmac_f64_e32 v[58:59], v[28:29], v[56:57]
	s_delay_alu instid0(VALU_DEP_2) | instskip(NEXT) | instid1(VALU_DEP_2)
	v_div_scale_f64 v[68:69], null, v[48:49], v[48:49], 0xc0080000
	v_add_f64_e32 v[56:57], v[62:63], v[58:59]
	s_delay_alu instid0(VALU_DEP_2) | instskip(NEXT) | instid1(VALU_DEP_1)
	v_rcp_f64_e32 v[72:73], v[68:69]
	v_dual_cndmask_b32 v61, v57, v63 :: v_dual_cndmask_b32 v60, v56, v62
	v_add_f64_e64 v[56:57], v[56:57], -v[62:63]
	s_delay_alu instid0(VALU_DEP_2) | instskip(SKIP_1) | instid1(TRANS32_DEP_1)
	v_mul_f64_e32 v[64:65], 0x3ff71547652b82fe, v[60:61]
	v_cmp_neq_f64_e64 s1, 0x7ff00000, |v[60:61]|
	v_fma_f64 v[74:75], -v[68:69], v[72:73], 1.0
	v_cmp_nlt_f64_e64 s2, 0x40900000, v[60:61]
	v_cmp_ngt_f64_e64 s3, 0xc090cc00, v[60:61]
	v_add_f64_e64 v[56:57], v[58:59], -v[56:57]
	v_mul_f64_e32 v[58:59], 0.5, v[28:29]
	v_rndne_f64_e32 v[64:65], v[64:65]
	v_fmac_f64_e32 v[72:73], v[72:73], v[74:75]
	s_delay_alu instid0(VALU_DEP_4) | instskip(SKIP_1) | instid1(VALU_DEP_3)
	v_dual_cndmask_b32 v57, 0, v57, s1 :: v_dual_cndmask_b32 v56, 0, v56, s1
	s_and_b32 s1, s3, s2
	v_fmamk_f64 v[66:67], v[64:65], 0xbfe62e42fefa39ef, v[60:61]
	v_cvt_i32_f64_e32 v74, v[64:65]
	s_delay_alu instid0(VALU_DEP_2) | instskip(NEXT) | instid1(VALU_DEP_1)
	v_fmac_f64_e32 v[66:67], 0xbc7abc9e3b39803f, v[64:65]
	v_fmamk_f64 v[70:71], v[66:67], 0x3e5ade156a5dcb37, v[26:27]
	s_delay_alu instid0(VALU_DEP_1) | instskip(NEXT) | instid1(VALU_DEP_1)
	v_fmaak_f64 v[70:71], v[66:67], v[70:71], 0x3ec71dee623fde64
	v_fmaak_f64 v[70:71], v[66:67], v[70:71], 0x3efa01997c89e6b0
	s_delay_alu instid0(VALU_DEP_1) | instskip(NEXT) | instid1(VALU_DEP_1)
	v_fmaak_f64 v[70:71], v[66:67], v[70:71], 0x3f2a01a014761f6e
	v_fmaak_f64 v[70:71], v[66:67], v[70:71], 0x3f56c16c1852b7b0
	;; [unrolled: 3-line block ×4, first 2 shown]
	s_delay_alu instid0(VALU_DEP_1) | instskip(NEXT) | instid1(VALU_DEP_1)
	v_fma_f64 v[70:71], v[66:67], v[70:71], 1.0
	v_fma_f64 v[64:65], v[66:67], v[70:71], 1.0
	v_fma_f64 v[66:67], -v[68:69], v[72:73], 1.0
	v_trunc_f64_e32 v[70:71], v[28:29]
	s_delay_alu instid0(VALU_DEP_3) | instskip(SKIP_1) | instid1(VALU_DEP_4)
	v_ldexp_f64 v[62:63], v[64:65], v74
	v_div_scale_f64 v[64:65], vcc_lo, 0xc0080000, v[48:49], 0xc0080000
	v_fmac_f64_e32 v[72:73], v[72:73], v[66:67]
	v_trunc_f64_e32 v[66:67], v[58:59]
	s_delay_alu instid0(VALU_DEP_4) | instskip(NEXT) | instid1(VALU_DEP_3)
	v_cndmask_b32_e64 v63, 0x7ff00000, v63, s2
	v_dual_mul_f64 v[60:61], v[64:65], v[72:73] :: v_dual_cndmask_b32 v62, 0, v62, s1
	s_delay_alu instid0(VALU_DEP_3) | instskip(NEXT) | instid1(VALU_DEP_3)
	v_cmp_neq_f64_e64 s1, v[66:67], v[58:59]
	v_cndmask_b32_e64 v63, 0, v63, s3
	v_cmp_eq_f64_e64 s3, v[70:71], v[28:29]
	s_delay_alu instid0(VALU_DEP_2) | instskip(SKIP_2) | instid1(VALU_DEP_2)
	v_fma_f64 v[56:57], v[62:63], v[56:57], v[62:63]
	v_cmp_class_f64_e64 s2, v[62:63], 0x204
	v_fma_f64 v[64:65], -v[68:69], v[60:61], v[64:65]
	v_dual_cndmask_b32 v29, v57, v63, s2 :: v_dual_cndmask_b32 v56, v56, v62, s2
	v_cmp_eq_f64_e64 s2, 0, v[52:53]
	s_delay_alu instid0(VALU_DEP_2) | instskip(NEXT) | instid1(VALU_DEP_4)
	v_cndmask_b32_e64 v57, 0, v56, s3
	v_div_fmas_f64 v[58:59], v[64:65], v[72:73], v[60:61]
	s_and_b32 vcc_lo, s3, s1
	v_cmp_gt_f64_e64 s1, 0, v[52:53]
	v_cndmask_b32_e32 v60, 0x3ff00000, v53, vcc_lo
	s_delay_alu instid0(VALU_DEP_1) | instskip(NEXT) | instid1(VALU_DEP_1)
	v_bfi_b32 v29, 0x7fffffff, v29, v60
	v_cndmask_b32_e64 v60, 0x7ff80000, v29, s3
	v_cmp_class_f64_e64 s3, v[52:53], 0x204
	v_cndmask_b32_e64 v52, 0x7ff00000, 0, s2
	v_cndmask_b32_e32 v53, 0, v53, vcc_lo
	s_delay_alu instid0(VALU_DEP_1)
	v_bfi_b32 v53, 0x7fffffff, v52, v53
	v_div_fixup_f64 v[48:49], v[58:59], v[48:49], 0xc0080000
	v_dual_cndmask_b32 v29, v29, v60, s1 :: v_dual_cndmask_b32 v56, v56, v57, s1
	s_or_b32 vcc_lo, s2, s3
	s_delay_alu instid0(VALU_DEP_1) | instid1(SALU_CYCLE_1)
	v_cndmask_b32_e64 v52, v56, 0, vcc_lo
	s_delay_alu instid0(VALU_DEP_2) | instskip(NEXT) | instid1(VALU_DEP_1)
	v_cndmask_b32_e32 v53, v29, v53, vcc_lo
	v_mul_f64_e32 v[52:53], v[48:49], v[52:53]
.LBB1_20:                               ;   in Loop: Header=BB1_6 Depth=1
	s_or_b32 exec_lo, exec_lo, s15
.LBB1_21:                               ;   in Loop: Header=BB1_6 Depth=1
	s_and_not1_saveexec_b32 s1, s14
	s_cbranch_execz .LBB1_23
; %bb.22:                               ;   in Loop: Header=BB1_6 Depth=1
	v_mul_f64_e64 v[48:49], s[12:13], s[12:13]
	s_delay_alu instid0(VALU_DEP_1) | instskip(SKIP_1) | instid1(VALU_DEP_2)
	v_div_scale_f64 v[52:53], null, v[48:49], v[48:49], -1.0
	v_div_scale_f64 v[60:61], vcc_lo, -1.0, v[48:49], -1.0
	v_rcp_f64_e32 v[56:57], v[52:53]
	v_nop
	s_delay_alu instid0(TRANS32_DEP_1) | instskip(NEXT) | instid1(VALU_DEP_1)
	v_fma_f64 v[58:59], -v[52:53], v[56:57], 1.0
	v_fmac_f64_e32 v[56:57], v[56:57], v[58:59]
	s_delay_alu instid0(VALU_DEP_1) | instskip(NEXT) | instid1(VALU_DEP_1)
	v_fma_f64 v[58:59], -v[52:53], v[56:57], 1.0
	v_fmac_f64_e32 v[56:57], v[56:57], v[58:59]
	s_delay_alu instid0(VALU_DEP_1) | instskip(NEXT) | instid1(VALU_DEP_1)
	v_mul_f64_e32 v[58:59], v[60:61], v[56:57]
	v_fma_f64 v[52:53], -v[52:53], v[58:59], v[60:61]
	s_delay_alu instid0(VALU_DEP_1) | instskip(NEXT) | instid1(VALU_DEP_1)
	v_div_fmas_f64 v[52:53], v[52:53], v[56:57], v[58:59]
	v_div_fixup_f64 v[48:49], v[52:53], v[48:49], -1.0
	v_fmaak_f64 v[52:53], s[30:31], v[40:41], 0x40080000
	s_delay_alu instid0(VALU_DEP_1)
	v_mul_f64_e32 v[52:53], v[48:49], v[52:53]
.LBB1_23:                               ;   in Loop: Header=BB1_6 Depth=1
	s_or_b32 exec_lo, exec_lo, s1
	s_delay_alu instid0(VALU_DEP_1)
	v_mul_f64_e32 v[52:53], v[36:37], v[52:53]
.LBB1_24:                               ;   in Loop: Header=BB1_6 Depth=1
	s_or_b32 exec_lo, exec_lo, s7
	v_add_f64_e64 v[48:49], s[8:9], s[8:9]
	v_add_f64_e32 v[56:57], s[4:5], v[4:5]
	v_div_scale_f64 v[60:61], null, s[34:35], s[34:35], s[12:13]
	s_delay_alu instid0(VALU_DEP_3) | instskip(NEXT) | instid1(VALU_DEP_2)
	v_mul_f64_e32 v[48:49], s[12:13], v[48:49]
	v_rcp_f64_e32 v[64:65], v[60:61]
	s_delay_alu instid0(VALU_DEP_1) | instskip(NEXT) | instid1(TRANS32_DEP_1)
	v_mul_f64_e32 v[48:49], s[38:39], v[48:49]
	v_fma_f64 v[68:69], -v[60:61], v[64:65], 1.0
	s_delay_alu instid0(VALU_DEP_2) | instskip(SKIP_1) | instid1(VALU_DEP_3)
	v_div_scale_f64 v[58:59], null, v[56:57], v[56:57], v[48:49]
	v_div_scale_f64 v[70:71], vcc_lo, v[48:49], v[56:57], v[48:49]
	v_fmac_f64_e32 v[64:65], v[64:65], v[68:69]
	s_delay_alu instid0(VALU_DEP_3) | instskip(NEXT) | instid1(VALU_DEP_1)
	v_rcp_f64_e32 v[62:63], v[58:59]
	v_fma_f64 v[68:69], -v[60:61], v[64:65], 1.0
	s_delay_alu instid0(TRANS32_DEP_1) | instskip(NEXT) | instid1(VALU_DEP_2)
	v_fma_f64 v[66:67], -v[58:59], v[62:63], 1.0
	v_fmac_f64_e32 v[64:65], v[64:65], v[68:69]
	s_delay_alu instid0(VALU_DEP_2) | instskip(NEXT) | instid1(VALU_DEP_1)
	v_fmac_f64_e32 v[62:63], v[62:63], v[66:67]
	v_fma_f64 v[66:67], -v[58:59], v[62:63], 1.0
	s_delay_alu instid0(VALU_DEP_1) | instskip(SKIP_1) | instid1(VALU_DEP_2)
	v_fmac_f64_e32 v[62:63], v[62:63], v[66:67]
	v_div_scale_f64 v[66:67], s1, s[12:13], 0x40240000, s[12:13]
	v_mul_f64_e32 v[68:69], v[70:71], v[62:63]
	s_delay_alu instid0(VALU_DEP_2) | instskip(NEXT) | instid1(VALU_DEP_2)
	v_mul_f64_e32 v[72:73], v[66:67], v[64:65]
	v_fma_f64 v[58:59], -v[58:59], v[68:69], v[70:71]
	s_delay_alu instid0(VALU_DEP_2) | instskip(NEXT) | instid1(VALU_DEP_2)
	v_fma_f64 v[60:61], -v[60:61], v[72:73], v[66:67]
	v_div_fmas_f64 v[58:59], v[58:59], v[62:63], v[68:69]
	s_mov_b32 vcc_lo, s1
	s_delay_alu instid0(VALU_DEP_2) | instskip(NEXT) | instid1(VALU_DEP_2)
	v_div_fmas_f64 v[60:61], v[60:61], v[64:65], v[72:73]
	v_div_fixup_f64 v[48:49], v[58:59], v[56:57], v[48:49]
	s_delay_alu instid0(VALU_DEP_2) | instskip(NEXT) | instid1(VALU_DEP_2)
	v_div_fixup_f64 v[60:61], v[60:61], 0x40240000, s[12:13]
	v_mul_f64_e32 v[48:49], v[50:51], v[48:49]
	s_delay_alu instid0(VALU_DEP_2) | instskip(NEXT) | instid1(VALU_DEP_1)
	v_mul_f64_e32 v[56:57], s[12:13], v[60:61]
	v_fmac_f64_e32 v[38:39], s[12:13], v[56:57]
	s_delay_alu instid0(VALU_DEP_1) | instskip(SKIP_1) | instid1(VALU_DEP_2)
	v_div_scale_f64 v[50:51], null, v[38:39], v[38:39], v[48:49]
	v_div_scale_f64 v[60:61], vcc_lo, v[48:49], v[38:39], v[48:49]
	v_rcp_f64_e32 v[56:57], v[50:51]
	v_nop
	s_delay_alu instid0(TRANS32_DEP_1) | instskip(NEXT) | instid1(VALU_DEP_1)
	v_fma_f64 v[58:59], -v[50:51], v[56:57], 1.0
	v_fmac_f64_e32 v[56:57], v[56:57], v[58:59]
	s_delay_alu instid0(VALU_DEP_1) | instskip(NEXT) | instid1(VALU_DEP_1)
	v_fma_f64 v[58:59], -v[50:51], v[56:57], 1.0
	v_fmac_f64_e32 v[56:57], v[56:57], v[58:59]
	s_delay_alu instid0(VALU_DEP_1) | instskip(NEXT) | instid1(VALU_DEP_1)
	v_mul_f64_e32 v[58:59], v[60:61], v[56:57]
	v_fma_f64 v[50:51], -v[50:51], v[58:59], v[60:61]
	s_delay_alu instid0(VALU_DEP_1) | instskip(NEXT) | instid1(VALU_DEP_1)
	v_div_fmas_f64 v[50:51], v[50:51], v[56:57], v[58:59]
	v_div_fixup_f64 v[38:39], v[50:51], v[38:39], v[48:49]
	s_delay_alu instid0(VALU_DEP_1) | instskip(NEXT) | instid1(VALU_DEP_1)
	v_mul_f64_e32 v[38:39], s[36:37], v[38:39]
	v_mul_f64_e32 v[38:39], v[38:39], v[52:53]
	s_delay_alu instid0(VALU_DEP_1)
	v_fmac_f64_e32 v[46:47], v[32:33], v[38:39]
	v_fmac_f64_e32 v[44:45], v[30:31], v[38:39]
	;; [unrolled: 1-line block ×3, first 2 shown]
.LBB1_25:                               ;   in Loop: Header=BB1_6 Depth=1
	s_or_b32 exec_lo, exec_lo, s6
	v_mov_b64_e32 v[38:39], 0
	s_and_saveexec_b32 s2, s0
	s_cbranch_execz .LBB1_4
; %bb.26:                               ;   in Loop: Header=BB1_6 Depth=1
                                        ; implicit-def: $vgpr38_vgpr39
	s_mov_b32 s0, exec_lo
	v_cmpx_ngt_f64_e32 1.0, v[40:41]
	s_xor_b32 s3, exec_lo, s0
	s_cbranch_execz .LBB1_30
; %bb.27:                               ;   in Loop: Header=BB1_6 Depth=1
	v_cmp_le_f64_e32 vcc_lo, 1.0, v[40:41]
	v_cmp_gt_f64_e64 s0, 2.0, v[40:41]
	v_mov_b64_e32 v[38:39], 0
	s_and_b32 s0, vcc_lo, s0
	s_delay_alu instid0(SALU_CYCLE_1)
	s_and_saveexec_b32 s4, s0
	s_cbranch_execz .LBB1_29
; %bb.28:                               ;   in Loop: Header=BB1_6 Depth=1
	v_add_f64_e64 v[38:39], -v[40:41], 2.0
	s_delay_alu instid0(VALU_DEP_1) | instskip(SKIP_1) | instid1(VALU_DEP_2)
	v_frexp_mant_f64_e64 v[40:41], |v[38:39]|
	v_cmp_class_f64_e64 s5, v[38:39], 0x204
	v_cmp_gt_f64_e32 vcc_lo, s[26:27], v[40:41]
	v_cndmask_b32_e64 v29, 0, 1, vcc_lo
	s_delay_alu instid0(VALU_DEP_1) | instskip(SKIP_1) | instid1(VALU_DEP_2)
	v_ldexp_f64 v[40:41], v[40:41], v29
	v_frexp_exp_i32_f64_e32 v29, v[38:39]
	v_add_f64_e32 v[48:49], 1.0, v[40:41]
	v_add_f64_e32 v[56:57], -1.0, v[40:41]
	s_delay_alu instid0(VALU_DEP_3) | instskip(SKIP_1) | instid1(VALU_DEP_4)
	v_subrev_co_ci_u32_e64 v29, null, 0, v29, vcc_lo
	v_cmp_eq_f64_e32 vcc_lo, 1.0, v[38:39]
	v_rcp_f64_e32 v[50:51], v[48:49]
	v_add_f64_e32 v[58:59], -1.0, v[48:49]
	s_delay_alu instid0(VALU_DEP_1) | instskip(NEXT) | instid1(TRANS32_DEP_1)
	v_add_f64_e64 v[40:41], v[40:41], -v[58:59]
	v_fma_f64 v[52:53], -v[48:49], v[50:51], 1.0
	s_delay_alu instid0(VALU_DEP_1) | instskip(NEXT) | instid1(VALU_DEP_1)
	v_fmac_f64_e32 v[50:51], v[52:53], v[50:51]
	v_fma_f64 v[52:53], -v[48:49], v[50:51], 1.0
	s_delay_alu instid0(VALU_DEP_1) | instskip(NEXT) | instid1(VALU_DEP_1)
	v_fmac_f64_e32 v[50:51], v[52:53], v[50:51]
	v_mul_f64_e32 v[52:53], v[56:57], v[50:51]
	s_delay_alu instid0(VALU_DEP_1) | instskip(NEXT) | instid1(VALU_DEP_1)
	v_mul_f64_e32 v[60:61], v[48:49], v[52:53]
	v_fma_f64 v[48:49], v[52:53], v[48:49], -v[60:61]
	s_delay_alu instid0(VALU_DEP_1) | instskip(NEXT) | instid1(VALU_DEP_1)
	v_fmac_f64_e32 v[48:49], v[52:53], v[40:41]
	v_add_f64_e32 v[40:41], v[60:61], v[48:49]
	s_delay_alu instid0(VALU_DEP_1) | instskip(SKIP_1) | instid1(VALU_DEP_2)
	v_add_f64_e64 v[58:59], v[56:57], -v[40:41]
	v_add_f64_e64 v[60:61], v[40:41], -v[60:61]
	v_add_f64_e64 v[56:57], v[56:57], -v[58:59]
	s_delay_alu instid0(VALU_DEP_2) | instskip(NEXT) | instid1(VALU_DEP_2)
	v_add_f64_e64 v[48:49], v[60:61], -v[48:49]
	v_add_f64_e64 v[40:41], v[56:57], -v[40:41]
	s_delay_alu instid0(VALU_DEP_1) | instskip(NEXT) | instid1(VALU_DEP_1)
	v_add_f64_e32 v[40:41], v[48:49], v[40:41]
	v_add_f64_e32 v[40:41], v[58:59], v[40:41]
	s_delay_alu instid0(VALU_DEP_1) | instskip(NEXT) | instid1(VALU_DEP_1)
	v_mul_f64_e32 v[40:41], v[50:51], v[40:41]
	v_add_f64_e32 v[48:49], v[52:53], v[40:41]
	s_delay_alu instid0(VALU_DEP_1) | instskip(SKIP_1) | instid1(VALU_DEP_2)
	v_add_f64_e64 v[50:51], v[48:49], -v[52:53]
	v_mul_f64_e32 v[52:53], v[48:49], v[48:49]
	v_add_f64_e64 v[40:41], v[40:41], -v[50:51]
	s_delay_alu instid0(VALU_DEP_2) | instskip(NEXT) | instid1(VALU_DEP_2)
	v_fma_f64 v[50:51], v[48:49], v[48:49], -v[52:53]
	v_add_f64_e32 v[56:57], v[40:41], v[40:41]
	s_delay_alu instid0(VALU_DEP_1) | instskip(NEXT) | instid1(VALU_DEP_1)
	v_fmac_f64_e32 v[50:51], v[48:49], v[56:57]
	v_add_f64_e32 v[56:57], v[52:53], v[50:51]
	s_delay_alu instid0(VALU_DEP_1) | instskip(SKIP_2) | instid1(VALU_DEP_3)
	v_fmamk_f64 v[58:59], v[56:57], 0x3fbdee674222de17, v[24:25]
	v_add_f64_e64 v[52:53], v[56:57], -v[52:53]
	v_mul_f64_e32 v[64:65], v[48:49], v[56:57]
	v_fmaak_f64 v[58:59], v[56:57], v[58:59], 0x3fbe25e43abe935a
	s_delay_alu instid0(VALU_DEP_1) | instskip(NEXT) | instid1(VALU_DEP_1)
	v_fmaak_f64 v[58:59], v[56:57], v[58:59], 0x3fc110ef47e6c9c2
	v_fmaak_f64 v[58:59], v[56:57], v[58:59], 0x3fc3b13bcfa74449
	s_delay_alu instid0(VALU_DEP_1) | instskip(SKIP_1) | instid1(VALU_DEP_2)
	v_fmaak_f64 v[58:59], v[56:57], v[58:59], 0x3fc745d171bf3c30
	v_add_f64_e64 v[50:51], v[50:51], -v[52:53]
	v_fmaak_f64 v[58:59], v[56:57], v[58:59], 0x3fcc71c71c7792ce
	s_delay_alu instid0(VALU_DEP_1) | instskip(NEXT) | instid1(VALU_DEP_1)
	v_fmaak_f64 v[58:59], v[56:57], v[58:59], 0x3fd24924924920da
	v_fmaak_f64 v[58:59], v[56:57], v[58:59], 0x3fd999999999999c
	s_delay_alu instid0(VALU_DEP_1) | instskip(NEXT) | instid1(VALU_DEP_1)
	v_mul_f64_e32 v[60:61], v[56:57], v[58:59]
	v_fma_f64 v[52:53], v[56:57], v[58:59], -v[60:61]
	s_delay_alu instid0(VALU_DEP_1) | instskip(NEXT) | instid1(VALU_DEP_1)
	v_fmac_f64_e32 v[52:53], v[50:51], v[58:59]
	v_add_f64_e32 v[58:59], v[60:61], v[52:53]
	s_delay_alu instid0(VALU_DEP_1) | instskip(SKIP_1) | instid1(VALU_DEP_2)
	v_add_f64_e32 v[62:63], 0x3fe5555555555555, v[58:59]
	v_add_f64_e64 v[60:61], v[58:59], -v[60:61]
	v_add_f64_e32 v[66:67], 0xbfe5555555555555, v[62:63]
	s_delay_alu instid0(VALU_DEP_2) | instskip(SKIP_1) | instid1(VALU_DEP_3)
	v_add_f64_e64 v[52:53], v[52:53], -v[60:61]
	v_fma_f64 v[60:61], v[56:57], v[48:49], -v[64:65]
	v_add_f64_e64 v[58:59], v[58:59], -v[66:67]
	s_delay_alu instid0(VALU_DEP_3) | instskip(NEXT) | instid1(VALU_DEP_3)
	v_add_f64_e32 v[52:53], 0x3c8543b0d5df274d, v[52:53]
	v_fmac_f64_e32 v[60:61], v[56:57], v[40:41]
	v_ldexp_f64 v[40:41], v[40:41], 1
	s_delay_alu instid0(VALU_DEP_3) | instskip(NEXT) | instid1(VALU_DEP_3)
	v_add_f64_e32 v[52:53], v[52:53], v[58:59]
	v_fmac_f64_e32 v[60:61], v[50:51], v[48:49]
	v_ldexp_f64 v[48:49], v[48:49], 1
	s_delay_alu instid0(VALU_DEP_3) | instskip(NEXT) | instid1(VALU_DEP_3)
	v_add_f64_e32 v[50:51], v[62:63], v[52:53]
	v_add_f64_e32 v[56:57], v[64:65], v[60:61]
	s_delay_alu instid0(VALU_DEP_2) | instskip(NEXT) | instid1(VALU_DEP_2)
	v_add_f64_e64 v[58:59], v[62:63], -v[50:51]
	v_mul_f64_e32 v[62:63], v[56:57], v[50:51]
	v_add_f64_e64 v[64:65], v[56:57], -v[64:65]
	s_delay_alu instid0(VALU_DEP_3) | instskip(NEXT) | instid1(VALU_DEP_3)
	v_add_f64_e32 v[52:53], v[52:53], v[58:59]
	v_fma_f64 v[58:59], v[56:57], v[50:51], -v[62:63]
	s_delay_alu instid0(VALU_DEP_3) | instskip(NEXT) | instid1(VALU_DEP_2)
	v_add_f64_e64 v[60:61], v[60:61], -v[64:65]
	v_fmac_f64_e32 v[58:59], v[56:57], v[52:53]
	v_cvt_f64_i32_e32 v[52:53], v29
	v_cndmask_b32_e32 v29, 0x40080000, v55, vcc_lo
	s_delay_alu instid0(VALU_DEP_3) | instskip(NEXT) | instid1(VALU_DEP_1)
	v_fmac_f64_e32 v[58:59], v[60:61], v[50:51]
	v_add_f64_e32 v[50:51], v[62:63], v[58:59]
	s_delay_alu instid0(VALU_DEP_1) | instskip(SKIP_2) | instid1(VALU_DEP_3)
	v_add_f64_e32 v[56:57], v[48:49], v[50:51]
	v_add_f64_e64 v[60:61], v[50:51], -v[62:63]
	v_mul_f64_e32 v[62:63], 0x3fe62e42fefa39ef, v[52:53]
	v_add_f64_e64 v[48:49], v[56:57], -v[48:49]
	s_delay_alu instid0(VALU_DEP_3) | instskip(NEXT) | instid1(VALU_DEP_3)
	v_add_f64_e64 v[58:59], v[58:59], -v[60:61]
	v_fma_f64 v[60:61], v[52:53], s[28:29], -v[62:63]
	s_delay_alu instid0(VALU_DEP_3) | instskip(NEXT) | instid1(VALU_DEP_3)
	v_add_f64_e64 v[48:49], v[50:51], -v[48:49]
	v_add_f64_e32 v[40:41], v[40:41], v[58:59]
	s_delay_alu instid0(VALU_DEP_3) | instskip(NEXT) | instid1(VALU_DEP_2)
	v_fmac_f64_e32 v[60:61], 0x3c7abc9e3b39803f, v[52:53]
	v_add_f64_e32 v[40:41], v[40:41], v[48:49]
	s_delay_alu instid0(VALU_DEP_2) | instskip(NEXT) | instid1(VALU_DEP_2)
	v_add_f64_e32 v[48:49], v[62:63], v[60:61]
	v_add_f64_e32 v[50:51], v[56:57], v[40:41]
	s_delay_alu instid0(VALU_DEP_2) | instskip(NEXT) | instid1(VALU_DEP_2)
	v_add_f64_e64 v[62:63], v[48:49], -v[62:63]
	v_add_f64_e32 v[52:53], v[48:49], v[50:51]
	v_add_f64_e64 v[56:57], v[50:51], -v[56:57]
	s_delay_alu instid0(VALU_DEP_3) | instskip(NEXT) | instid1(VALU_DEP_3)
	v_add_f64_e64 v[60:61], v[60:61], -v[62:63]
	v_add_f64_e64 v[58:59], v[52:53], -v[48:49]
	s_delay_alu instid0(VALU_DEP_3) | instskip(NEXT) | instid1(VALU_DEP_2)
	v_add_f64_e64 v[40:41], v[40:41], -v[56:57]
	v_add_f64_e64 v[64:65], v[52:53], -v[58:59]
	;; [unrolled: 1-line block ×3, first 2 shown]
	s_delay_alu instid0(VALU_DEP_3) | instskip(NEXT) | instid1(VALU_DEP_3)
	v_add_f64_e32 v[56:57], v[60:61], v[40:41]
	v_add_f64_e64 v[48:49], v[48:49], -v[64:65]
	s_delay_alu instid0(VALU_DEP_1) | instskip(NEXT) | instid1(VALU_DEP_3)
	v_add_f64_e32 v[48:49], v[50:51], v[48:49]
	v_add_f64_e64 v[50:51], v[56:57], -v[60:61]
	s_delay_alu instid0(VALU_DEP_2) | instskip(NEXT) | instid1(VALU_DEP_2)
	v_add_f64_e32 v[48:49], v[56:57], v[48:49]
	v_add_f64_e64 v[56:57], v[56:57], -v[50:51]
	v_add_f64_e64 v[40:41], v[40:41], -v[50:51]
	s_delay_alu instid0(VALU_DEP_3) | instskip(NEXT) | instid1(VALU_DEP_3)
	v_add_f64_e32 v[58:59], v[52:53], v[48:49]
	v_add_f64_e64 v[50:51], v[60:61], -v[56:57]
	s_delay_alu instid0(VALU_DEP_2) | instskip(NEXT) | instid1(VALU_DEP_2)
	v_add_f64_e64 v[52:53], v[58:59], -v[52:53]
	v_add_f64_e32 v[40:41], v[40:41], v[50:51]
	s_delay_alu instid0(VALU_DEP_2) | instskip(NEXT) | instid1(VALU_DEP_1)
	v_add_f64_e64 v[48:49], v[48:49], -v[52:53]
	v_add_f64_e32 v[40:41], v[40:41], v[48:49]
	s_delay_alu instid0(VALU_DEP_1) | instskip(NEXT) | instid1(VALU_DEP_1)
	v_add_f64_e32 v[48:49], v[58:59], v[40:41]
	v_add_f64_e64 v[50:51], v[48:49], -v[58:59]
	v_mul_f64_e32 v[52:53], v[28:29], v[48:49]
	s_delay_alu instid0(VALU_DEP_2) | instskip(NEXT) | instid1(VALU_DEP_2)
	v_add_f64_e64 v[40:41], v[40:41], -v[50:51]
	v_fma_f64 v[48:49], v[28:29], v[48:49], -v[52:53]
	v_cmp_class_f64_e64 vcc_lo, v[52:53], 0x204
	s_delay_alu instid0(VALU_DEP_2) | instskip(NEXT) | instid1(VALU_DEP_1)
	v_fmac_f64_e32 v[48:49], v[28:29], v[40:41]
	v_add_f64_e32 v[40:41], v[52:53], v[48:49]
	s_delay_alu instid0(VALU_DEP_1) | instskip(SKIP_1) | instid1(VALU_DEP_2)
	v_dual_cndmask_b32 v51, v41, v53 :: v_dual_cndmask_b32 v50, v40, v52
	v_add_f64_e64 v[40:41], v[40:41], -v[52:53]
	v_mul_f64_e32 v[56:57], 0x3ff71547652b82fe, v[50:51]
	v_cmp_nlt_f64_e64 s0, 0x40900000, v[50:51]
	v_cmp_neq_f64_e64 vcc_lo, 0x7ff00000, |v[50:51]|
	v_cmp_ngt_f64_e64 s1, 0xc090cc00, v[50:51]
	v_add_f64_e64 v[40:41], v[48:49], -v[40:41]
	v_mul_f64_e32 v[48:49], 0.5, v[28:29]
	v_rndne_f64_e32 v[56:57], v[56:57]
	s_delay_alu instid0(VALU_DEP_3) | instskip(SKIP_1) | instid1(VALU_DEP_2)
	v_dual_cndmask_b32 v41, 0, v41 :: v_dual_cndmask_b32 v40, 0, v40
	s_and_b32 vcc_lo, s1, s0
	v_fmamk_f64 v[58:59], v[56:57], 0xbfe62e42fefa39ef, v[50:51]
	v_cvt_i32_f64_e32 v62, v[56:57]
	s_delay_alu instid0(VALU_DEP_2) | instskip(NEXT) | instid1(VALU_DEP_1)
	v_fmac_f64_e32 v[58:59], 0xbc7abc9e3b39803f, v[56:57]
	v_fmamk_f64 v[60:61], v[58:59], 0x3e5ade156a5dcb37, v[26:27]
	s_delay_alu instid0(VALU_DEP_1) | instskip(NEXT) | instid1(VALU_DEP_1)
	v_fmaak_f64 v[60:61], v[58:59], v[60:61], 0x3ec71dee623fde64
	v_fmaak_f64 v[60:61], v[58:59], v[60:61], 0x3efa01997c89e6b0
	s_delay_alu instid0(VALU_DEP_1) | instskip(NEXT) | instid1(VALU_DEP_1)
	v_fmaak_f64 v[60:61], v[58:59], v[60:61], 0x3f2a01a014761f6e
	v_fmaak_f64 v[60:61], v[58:59], v[60:61], 0x3f56c16c1852b7b0
	;; [unrolled: 3-line block ×4, first 2 shown]
	s_delay_alu instid0(VALU_DEP_1) | instskip(NEXT) | instid1(VALU_DEP_1)
	v_fma_f64 v[60:61], v[58:59], v[60:61], 1.0
	v_fma_f64 v[56:57], v[58:59], v[60:61], 1.0
	s_delay_alu instid0(VALU_DEP_1) | instskip(SKIP_1) | instid1(VALU_DEP_2)
	v_ldexp_f64 v[52:53], v[56:57], v62
	v_trunc_f64_e32 v[56:57], v[28:29]
	v_cndmask_b32_e64 v53, 0x7ff00000, v53, s0
	s_delay_alu instid0(VALU_DEP_1) | instskip(SKIP_1) | instid1(VALU_DEP_4)
	v_dual_cndmask_b32 v50, 0, v52, vcc_lo :: v_dual_cndmask_b32 v51, 0, v53, s1
	v_trunc_f64_e32 v[52:53], v[48:49]
	v_cmp_eq_f64_e64 s1, v[56:57], v[28:29]
	s_delay_alu instid0(VALU_DEP_3) | instskip(SKIP_1) | instid1(VALU_DEP_4)
	v_fma_f64 v[40:41], v[50:51], v[40:41], v[50:51]
	v_cmp_class_f64_e64 s0, v[50:51], 0x204
	v_cmp_neq_f64_e32 vcc_lo, v[52:53], v[48:49]
	s_delay_alu instid0(VALU_DEP_2) | instskip(SKIP_1) | instid1(VALU_DEP_2)
	v_dual_cndmask_b32 v29, v41, v51, s0 :: v_dual_cndmask_b32 v40, v40, v50, s0
	v_cmp_gt_f64_e64 s0, 0, v[38:39]
	v_cndmask_b32_e64 v41, 0, v40, s1
	s_and_b32 vcc_lo, s1, vcc_lo
	v_cndmask_b32_e32 v48, 0x3ff00000, v39, vcc_lo
	s_delay_alu instid0(VALU_DEP_1) | instskip(NEXT) | instid1(VALU_DEP_3)
	v_bfi_b32 v29, 0x7fffffff, v29, v48
	v_cndmask_b32_e64 v40, v40, v41, s0
	s_delay_alu instid0(VALU_DEP_2) | instskip(SKIP_1) | instid1(VALU_DEP_2)
	v_cndmask_b32_e64 v48, 0x7ff80000, v29, s1
	v_cmp_eq_f64_e64 s1, 0, v[38:39]
	v_dual_cndmask_b32 v39, 0, v39, vcc_lo :: v_dual_cndmask_b32 v29, v29, v48, s0
	s_delay_alu instid0(VALU_DEP_2) | instskip(SKIP_1) | instid1(VALU_DEP_1)
	v_cndmask_b32_e64 v38, 0x7ff00000, 0, s1
	s_or_b32 vcc_lo, s1, s5
	v_bfi_b32 v39, 0x7fffffff, v38, v39
	v_cndmask_b32_e64 v38, v40, 0, vcc_lo
	s_delay_alu instid0(VALU_DEP_2) | instskip(NEXT) | instid1(VALU_DEP_1)
	v_cndmask_b32_e32 v39, v29, v39, vcc_lo
	v_ldexp_f64 v[38:39], v[38:39], -2
.LBB1_29:                               ;   in Loop: Header=BB1_6 Depth=1
	s_or_b32 exec_lo, exec_lo, s4
                                        ; implicit-def: $vgpr40_vgpr41
.LBB1_30:                               ;   in Loop: Header=BB1_6 Depth=1
	s_and_not1_saveexec_b32 s0, s3
	s_cbranch_execz .LBB1_3
; %bb.31:                               ;   in Loop: Header=BB1_6 Depth=1
	v_mul_f64_e32 v[38:39], 0xbff80000, v[40:41]
	v_mul_f64_e32 v[48:49], 0x3fe80000, v[40:41]
	s_delay_alu instid0(VALU_DEP_2) | instskip(NEXT) | instid1(VALU_DEP_2)
	v_fma_f64 v[38:39], v[40:41], v[38:39], 1.0
	v_mul_f64_e32 v[48:49], v[40:41], v[48:49]
	s_delay_alu instid0(VALU_DEP_1)
	v_fmac_f64_e32 v[38:39], v[40:41], v[48:49]
	s_branch .LBB1_3
.LBB1_32:
	v_mov_b64_e32 v[6:7], 0xc02399999999999a
	v_mov_b64_e32 v[0:1], 0
	;; [unrolled: 1-line block ×3, first 2 shown]
.LBB1_33:
	s_clause 0x1
	global_store_b128 v[20:21], v[0:3], off offset:88
	global_store_b64 v[20:21], v[6:7], off offset:104
.LBB1_34:
	s_sendmsg sendmsg(MSG_DEALLOC_VGPRS)
	s_endpgm
	.section	.rodata,"a",@progbits
	.p2align	6, 0x0
	.amdhsa_kernel _Z21updateAccelerationsFPP14fluid_particlePK5param
		.amdhsa_group_segment_fixed_size 0
		.amdhsa_private_segment_fixed_size 0
		.amdhsa_kernarg_size 272
		.amdhsa_user_sgpr_count 2
		.amdhsa_user_sgpr_dispatch_ptr 0
		.amdhsa_user_sgpr_queue_ptr 0
		.amdhsa_user_sgpr_kernarg_segment_ptr 1
		.amdhsa_user_sgpr_dispatch_id 0
		.amdhsa_user_sgpr_kernarg_preload_length 0
		.amdhsa_user_sgpr_kernarg_preload_offset 0
		.amdhsa_user_sgpr_private_segment_size 0
		.amdhsa_wavefront_size32 1
		.amdhsa_uses_dynamic_stack 0
		.amdhsa_enable_private_segment 0
		.amdhsa_system_sgpr_workgroup_id_x 1
		.amdhsa_system_sgpr_workgroup_id_y 0
		.amdhsa_system_sgpr_workgroup_id_z 0
		.amdhsa_system_sgpr_workgroup_info 0
		.amdhsa_system_vgpr_workitem_id 0
		.amdhsa_next_free_vgpr 76
		.amdhsa_next_free_sgpr 44
		.amdhsa_named_barrier_count 0
		.amdhsa_reserve_vcc 1
		.amdhsa_float_round_mode_32 0
		.amdhsa_float_round_mode_16_64 0
		.amdhsa_float_denorm_mode_32 3
		.amdhsa_float_denorm_mode_16_64 3
		.amdhsa_fp16_overflow 0
		.amdhsa_memory_ordered 1
		.amdhsa_forward_progress 1
		.amdhsa_inst_pref_size 55
		.amdhsa_round_robin_scheduling 0
		.amdhsa_exception_fp_ieee_invalid_op 0
		.amdhsa_exception_fp_denorm_src 0
		.amdhsa_exception_fp_ieee_div_zero 0
		.amdhsa_exception_fp_ieee_overflow 0
		.amdhsa_exception_fp_ieee_underflow 0
		.amdhsa_exception_fp_ieee_inexact 0
		.amdhsa_exception_int_div_zero 0
	.end_amdhsa_kernel
	.text
.Lfunc_end1:
	.size	_Z21updateAccelerationsFPP14fluid_particlePK5param, .Lfunc_end1-_Z21updateAccelerationsFPP14fluid_particlePK5param
                                        ; -- End function
	.set _Z21updateAccelerationsFPP14fluid_particlePK5param.num_vgpr, 76
	.set _Z21updateAccelerationsFPP14fluid_particlePK5param.num_agpr, 0
	.set _Z21updateAccelerationsFPP14fluid_particlePK5param.numbered_sgpr, 44
	.set _Z21updateAccelerationsFPP14fluid_particlePK5param.num_named_barrier, 0
	.set _Z21updateAccelerationsFPP14fluid_particlePK5param.private_seg_size, 0
	.set _Z21updateAccelerationsFPP14fluid_particlePK5param.uses_vcc, 1
	.set _Z21updateAccelerationsFPP14fluid_particlePK5param.uses_flat_scratch, 0
	.set _Z21updateAccelerationsFPP14fluid_particlePK5param.has_dyn_sized_stack, 0
	.set _Z21updateAccelerationsFPP14fluid_particlePK5param.has_recursion, 0
	.set _Z21updateAccelerationsFPP14fluid_particlePK5param.has_indirect_call, 0
	.section	.AMDGPU.csdata,"",@progbits
; Kernel info:
; codeLenInByte = 6944
; TotalNumSgprs: 46
; NumVgprs: 76
; ScratchSize: 0
; MemoryBound: 1
; FloatMode: 240
; IeeeMode: 1
; LDSByteSize: 0 bytes/workgroup (compile time only)
; SGPRBlocks: 0
; VGPRBlocks: 4
; NumSGPRsForWavesPerEU: 46
; NumVGPRsForWavesPerEU: 76
; NamedBarCnt: 0
; Occupancy: 12
; WaveLimiterHint : 0
; COMPUTE_PGM_RSRC2:SCRATCH_EN: 0
; COMPUTE_PGM_RSRC2:USER_SGPR: 2
; COMPUTE_PGM_RSRC2:TRAP_HANDLER: 0
; COMPUTE_PGM_RSRC2:TGID_X_EN: 1
; COMPUTE_PGM_RSRC2:TGID_Y_EN: 0
; COMPUTE_PGM_RSRC2:TGID_Z_EN: 0
; COMPUTE_PGM_RSRC2:TIDIG_COMP_CNT: 0
	.text
	.protected	_Z21updateAccelerationsBPP14fluid_particlePK17boundary_particlePK5param ; -- Begin function _Z21updateAccelerationsBPP14fluid_particlePK17boundary_particlePK5param
	.globl	_Z21updateAccelerationsBPP14fluid_particlePK17boundary_particlePK5param
	.p2align	8
	.type	_Z21updateAccelerationsBPP14fluid_particlePK17boundary_particlePK5param,@function
_Z21updateAccelerationsBPP14fluid_particlePK17boundary_particlePK5param: ; @_Z21updateAccelerationsBPP14fluid_particlePK17boundary_particlePK5param
; %bb.0:
	s_clause 0x1
	s_load_b64 s[2:3], s[0:1], 0x10
	s_load_b32 s4, s[0:1], 0x24
	s_bfe_u32 s5, ttmp6, 0x4000c
	s_and_b32 s6, ttmp6, 15
	s_add_co_i32 s5, s5, 1
	s_getreg_b32 s7, hwreg(HW_REG_IB_STS2, 6, 4)
	s_mul_i32 s5, ttmp9, s5
	s_delay_alu instid0(SALU_CYCLE_1)
	s_add_co_i32 s6, s6, s5
	s_wait_kmcnt 0x0
	s_load_b64 s[12:13], s[2:3], 0x4c
	s_and_b32 s4, s4, 0xffff
	s_cmp_eq_u32 s7, 0
	s_cselect_b32 s5, ttmp9, s6
	s_delay_alu instid0(SALU_CYCLE_1) | instskip(SKIP_2) | instid1(VALU_DEP_1)
	v_mad_u32 v0, s5, s4, v0
	s_mov_b32 s4, exec_lo
	s_wait_kmcnt 0x0
	v_cmpx_gt_i32_e64 s12, v0
	s_cbranch_execz .LBB2_15
; %bb.1:
	s_load_b64 s[4:5], s[0:1], 0x0
	s_cmp_lt_i32 s13, 1
	s_wait_kmcnt 0x0
	v_mad_nc_i64_i32 v[8:9], 0x70, v0, s[4:5]
	s_clause 0x1
	global_load_b64 v[10:11], v[8:9], off offset:104
	global_load_b128 v[0:3], v[8:9], off offset:88
	s_cbranch_scc1 .LBB2_14
; %bb.2:
	s_clause 0x1
	global_load_b64 v[12:13], v[8:9], off offset:32
	global_load_b128 v[4:7], v[8:9], off offset:16
	s_load_b64 s[4:5], s[0:1], 0x8
	s_clause 0x1
	s_load_b64 s[14:15], s[2:3], 0x18
	s_load_b64 s[16:17], s[2:3], 0x40
	v_mov_b32_e32 v14, 0
	s_mov_b64 s[18:19], 0xffffffffffffffe8
	s_mov_b64 s[20:21], 0x3fe5555555555555
	s_wait_kmcnt 0x0
	s_add_nc_u64 s[22:23], s[4:5], 24
	s_branch .LBB2_5
.LBB2_3:                                ;   in Loop: Header=BB2_5 Depth=1
	s_or_b32 exec_lo, exec_lo, s0
.LBB2_4:                                ;   in Loop: Header=BB2_5 Depth=1
	s_delay_alu instid0(SALU_CYCLE_1) | instskip(SKIP_4) | instid1(VALU_DEP_1)
	s_or_b32 exec_lo, exec_lo, s1
	v_mul_f64_e32 v[18:19], s[16:17], v[18:19]
	s_add_co_i32 s13, s13, -1
	s_add_nc_u64 s[22:23], s[22:23], 48
	s_cmp_eq_u32 s13, 0
	v_mul_f64_e32 v[18:19], s[16:17], v[18:19]
	s_delay_alu instid0(VALU_DEP_1) | instskip(SKIP_1) | instid1(VALU_DEP_2)
	v_div_scale_f64 v[22:23], null, v[16:17], v[16:17], v[18:19]
	v_div_scale_f64 v[28:29], vcc_lo, v[18:19], v[16:17], v[18:19]
	v_rcp_f64_e32 v[24:25], v[22:23]
	v_nop
	s_delay_alu instid0(TRANS32_DEP_1) | instskip(NEXT) | instid1(VALU_DEP_1)
	v_fma_f64 v[26:27], -v[22:23], v[24:25], 1.0
	v_fmac_f64_e32 v[24:25], v[24:25], v[26:27]
	s_delay_alu instid0(VALU_DEP_1) | instskip(NEXT) | instid1(VALU_DEP_1)
	v_fma_f64 v[26:27], -v[22:23], v[24:25], 1.0
	v_fmac_f64_e32 v[24:25], v[24:25], v[26:27]
	s_delay_alu instid0(VALU_DEP_1) | instskip(NEXT) | instid1(VALU_DEP_1)
	v_mul_f64_e32 v[26:27], v[28:29], v[24:25]
	v_fma_f64 v[22:23], -v[22:23], v[26:27], v[28:29]
	s_delay_alu instid0(VALU_DEP_1) | instskip(NEXT) | instid1(VALU_DEP_1)
	v_div_fmas_f64 v[22:23], v[22:23], v[24:25], v[26:27]
	v_div_fixup_f64 v[16:17], v[22:23], v[16:17], v[18:19]
	s_delay_alu instid0(VALU_DEP_1) | instskip(NEXT) | instid1(VALU_DEP_1)
	v_mul_f64_e32 v[16:17], v[16:17], v[20:21]
	v_fmac_f64_e32 v[0:1], s[6:7], v[16:17]
	v_fmac_f64_e32 v[2:3], s[8:9], v[16:17]
	;; [unrolled: 1-line block ×3, first 2 shown]
	s_cbranch_scc1 .LBB2_14
.LBB2_5:                                ; =>This Inner Loop Header: Depth=1
	s_add_nc_u64 s[8:9], s[22:23], s[18:19]
	s_load_b256 s[0:7], s[8:9], 0x0
	s_wait_xcnt 0x0
	s_load_b128 s[8:11], s[22:23], 0x8
	s_wait_loadcnt 0x0
	s_wait_kmcnt 0x0
	v_add_f64_e64 v[16:17], v[6:7], -s[2:3]
	v_mul_f64_e64 v[18:19], s[8:9], s[8:9]
	v_add_f64_e64 v[20:21], v[4:5], -s[0:1]
	v_add_f64_e64 v[22:23], v[12:13], -s[4:5]
	v_mul_f64_e64 v[24:25], s[6:7], s[6:7]
	v_mul_f64_e64 v[28:29], s[10:11], s[10:11]
	v_mul_f64_e32 v[16:17], v[16:17], v[16:17]
	v_mul_f64_e32 v[26:27], v[20:21], v[20:21]
	s_delay_alu instid0(VALU_DEP_2) | instskip(SKIP_2) | instid1(VALU_DEP_3)
	v_mul_f64_e32 v[18:19], v[16:17], v[18:19]
	v_fma_f64 v[16:17], v[20:21], v[20:21], v[16:17]
	v_mul_f64_e32 v[20:21], v[22:23], v[22:23]
	v_fmac_f64_e32 v[18:19], v[26:27], v[24:25]
	s_delay_alu instid0(VALU_DEP_3) | instskip(NEXT) | instid1(VALU_DEP_2)
	v_fmac_f64_e32 v[16:17], v[22:23], v[22:23]
	v_fmac_f64_e32 v[18:19], v[20:21], v[28:29]
	s_delay_alu instid0(VALU_DEP_2) | instskip(NEXT) | instid1(VALU_DEP_2)
	v_cmp_gt_f64_e32 vcc_lo, 0x10000000, v[16:17]
	v_cmp_gt_f64_e64 s0, 0x10000000, v[18:19]
	v_cndmask_b32_e64 v15, 0, 0x100, vcc_lo
	s_delay_alu instid0(VALU_DEP_1) | instskip(SKIP_1) | instid1(VALU_DEP_4)
	v_ldexp_f64 v[16:17], v[16:17], v15
	v_cndmask_b32_e64 v15, 0, 0xffffff80, vcc_lo
	v_cndmask_b32_e64 v20, 0, 0x100, s0
	s_delay_alu instid0(VALU_DEP_1) | instskip(NEXT) | instid1(VALU_DEP_4)
	v_ldexp_f64 v[18:19], v[18:19], v20
	v_cmp_class_f64_e64 vcc_lo, v[16:17], 0x260
	v_rsq_f64_e32 v[20:21], v[16:17]
	s_delay_alu instid0(VALU_DEP_2) | instskip(SKIP_1) | instid1(TRANS32_DEP_1)
	v_rsq_f64_e32 v[22:23], v[18:19]
	v_nop
	v_mul_f64_e32 v[26:27], v[18:19], v[22:23]
	v_mul_f64_e32 v[22:23], 0.5, v[22:23]
	s_delay_alu instid0(VALU_DEP_1) | instskip(NEXT) | instid1(VALU_DEP_1)
	v_fma_f64 v[30:31], -v[22:23], v[26:27], 0.5
	v_fmac_f64_e32 v[26:27], v[26:27], v[30:31]
	v_fmac_f64_e32 v[22:23], v[22:23], v[30:31]
	s_delay_alu instid0(VALU_DEP_2) | instskip(NEXT) | instid1(VALU_DEP_1)
	v_fma_f64 v[30:31], -v[26:27], v[26:27], v[18:19]
	v_fmac_f64_e32 v[26:27], v[30:31], v[22:23]
	s_delay_alu instid0(VALU_DEP_1) | instskip(NEXT) | instid1(VALU_DEP_1)
	v_fma_f64 v[30:31], -v[26:27], v[26:27], v[18:19]
	v_fmac_f64_e32 v[26:27], v[30:31], v[22:23]
	v_cndmask_b32_e64 v22, 0, 0xffffff80, s0
	v_cmp_class_f64_e64 s0, v[18:19], 0x260
	s_delay_alu instid0(VALU_DEP_2) | instskip(NEXT) | instid1(TRANS32_DEP_2)
	v_ldexp_f64 v[22:23], v[26:27], v22
	v_mul_f64_e32 v[24:25], v[16:17], v[20:21]
	v_mul_f64_e32 v[20:21], 0.5, v[20:21]
	s_delay_alu instid0(VALU_DEP_1) | instskip(NEXT) | instid1(VALU_DEP_1)
	v_fma_f64 v[28:29], -v[20:21], v[24:25], 0.5
	v_fmac_f64_e32 v[24:25], v[24:25], v[28:29]
	v_fmac_f64_e32 v[20:21], v[20:21], v[28:29]
	s_delay_alu instid0(VALU_DEP_2) | instskip(NEXT) | instid1(VALU_DEP_1)
	v_fma_f64 v[28:29], -v[24:25], v[24:25], v[16:17]
	v_fmac_f64_e32 v[24:25], v[28:29], v[20:21]
	s_delay_alu instid0(VALU_DEP_1) | instskip(NEXT) | instid1(VALU_DEP_1)
	v_fma_f64 v[28:29], -v[24:25], v[24:25], v[16:17]
	v_fmac_f64_e32 v[24:25], v[28:29], v[20:21]
	s_delay_alu instid0(VALU_DEP_1) | instskip(NEXT) | instid1(VALU_DEP_1)
	v_ldexp_f64 v[20:21], v[24:25], v15
	v_dual_cndmask_b32 v21, v21, v17 :: v_dual_cndmask_b32 v20, v20, v16
	v_dual_cndmask_b32 v17, v23, v19, s0 :: v_dual_cndmask_b32 v16, v22, v18, s0
	s_delay_alu instid0(VALU_DEP_1) | instskip(NEXT) | instid1(VALU_DEP_1)
	v_add_f64_e64 v[20:21], v[20:21], -v[16:17]
	v_div_scale_f64 v[18:19], null, s[14:15], s[14:15], v[20:21]
	s_delay_alu instid0(VALU_DEP_1) | instskip(SKIP_1) | instid1(TRANS32_DEP_1)
	v_rcp_f64_e32 v[22:23], v[18:19]
	v_nop
	v_fma_f64 v[24:25], -v[18:19], v[22:23], 1.0
	s_delay_alu instid0(VALU_DEP_1) | instskip(NEXT) | instid1(VALU_DEP_1)
	v_fmac_f64_e32 v[22:23], v[22:23], v[24:25]
	v_fma_f64 v[24:25], -v[18:19], v[22:23], 1.0
	s_delay_alu instid0(VALU_DEP_1) | instskip(SKIP_1) | instid1(VALU_DEP_1)
	v_fmac_f64_e32 v[22:23], v[22:23], v[24:25]
	v_div_scale_f64 v[24:25], vcc_lo, v[20:21], s[14:15], v[20:21]
	v_mul_f64_e32 v[26:27], v[24:25], v[22:23]
	s_delay_alu instid0(VALU_DEP_1) | instskip(NEXT) | instid1(VALU_DEP_1)
	v_fma_f64 v[18:19], -v[18:19], v[26:27], v[24:25]
	v_div_fmas_f64 v[18:19], v[18:19], v[22:23], v[26:27]
	s_delay_alu instid0(VALU_DEP_1) | instskip(NEXT) | instid1(VALU_DEP_1)
	v_div_fixup_f64 v[18:19], v[18:19], s[14:15], v[20:21]
	v_cmp_neq_f64_e32 vcc_lo, 1.0, v[18:19]
	v_mov_b64_e32 v[18:19], 0
	s_and_saveexec_b32 s0, vcc_lo
	s_cbranch_execz .LBB2_7
; %bb.6:                                ;   in Loop: Header=BB2_5 Depth=1
	v_cmp_gt_f64_e32 vcc_lo, s[14:15], v[20:21]
	v_cndmask_b32_e64 v15, 0, 0x3ff00000, vcc_lo
	s_delay_alu instid0(VALU_DEP_1) | instskip(NEXT) | instid1(VALU_DEP_1)
	v_add_f64_e32 v[18:19], v[14:15], v[14:15]
	v_mul_f64_e32 v[18:19], 0x3f947ae147ae147b, v[18:19]
.LBB2_7:                                ;   in Loop: Header=BB2_5 Depth=1
	s_or_b32 exec_lo, exec_lo, s0
	v_div_scale_f64 v[20:21], null, s[14:15], s[14:15], v[16:17]
	v_div_scale_f64 v[26:27], vcc_lo, v[16:17], s[14:15], v[16:17]
	s_delay_alu instid0(VALU_DEP_2) | instskip(SKIP_1) | instid1(TRANS32_DEP_1)
	v_rcp_f64_e32 v[22:23], v[20:21]
	v_nop
	v_fma_f64 v[24:25], -v[20:21], v[22:23], 1.0
	s_delay_alu instid0(VALU_DEP_1) | instskip(NEXT) | instid1(VALU_DEP_1)
	v_fmac_f64_e32 v[22:23], v[22:23], v[24:25]
	v_fma_f64 v[24:25], -v[20:21], v[22:23], 1.0
	s_delay_alu instid0(VALU_DEP_1) | instskip(NEXT) | instid1(VALU_DEP_1)
	v_fmac_f64_e32 v[22:23], v[22:23], v[24:25]
	v_mul_f64_e32 v[24:25], v[26:27], v[22:23]
	s_delay_alu instid0(VALU_DEP_1) | instskip(NEXT) | instid1(VALU_DEP_1)
	v_fma_f64 v[20:21], -v[20:21], v[24:25], v[26:27]
	v_div_fmas_f64 v[20:21], v[20:21], v[22:23], v[24:25]
	s_delay_alu instid0(VALU_DEP_1) | instskip(SKIP_1) | instid1(VALU_DEP_2)
	v_div_fixup_f64 v[22:23], v[20:21], s[14:15], v[16:17]
	v_mov_b64_e32 v[20:21], 0x3fe5555555555555
	v_cmp_nlt_f64_e32 vcc_lo, 0, v[22:23]
	s_delay_alu instid0(VALU_DEP_2) | instskip(SKIP_1) | instid1(SALU_CYCLE_1)
	v_cmp_nlt_f64_e64 s0, v[22:23], v[20:21]
	s_or_b32 s0, vcc_lo, s0
	s_and_saveexec_b32 s1, s0
	s_cbranch_execz .LBB2_4
; %bb.8:                                ;   in Loop: Header=BB2_5 Depth=1
	v_cmp_ngt_f64_e32 vcc_lo, 1.0, v[22:23]
	v_cmp_nlt_f64_e64 s0, s[20:21], v[22:23]
                                        ; implicit-def: $vgpr20_vgpr21
	s_or_b32 s0, vcc_lo, s0
	s_delay_alu instid0(SALU_CYCLE_1) | instskip(NEXT) | instid1(SALU_CYCLE_1)
	s_and_saveexec_b32 s2, s0
	s_xor_b32 s2, exec_lo, s2
	s_cbranch_execz .LBB2_12
; %bb.9:                                ;   in Loop: Header=BB2_5 Depth=1
	v_cmp_gt_f64_e32 vcc_lo, 2.0, v[22:23]
	v_cmp_lt_f64_e64 s0, 1.0, v[22:23]
	v_mov_b64_e32 v[20:21], 0
	s_and_b32 s3, vcc_lo, s0
	s_delay_alu instid0(SALU_CYCLE_1)
	s_and_saveexec_b32 s0, s3
	s_cbranch_execz .LBB2_11
; %bb.10:                               ;   in Loop: Header=BB2_5 Depth=1
	v_add_f64_e64 v[20:21], -v[22:23], 2.0
	s_delay_alu instid0(VALU_DEP_1) | instskip(NEXT) | instid1(VALU_DEP_1)
	v_mul_f64_e32 v[22:23], 0.5, v[20:21]
	v_mul_f64_e32 v[20:21], v[20:21], v[22:23]
.LBB2_11:                               ;   in Loop: Header=BB2_5 Depth=1
	s_or_b32 exec_lo, exec_lo, s0
                                        ; implicit-def: $vgpr22_vgpr23
.LBB2_12:                               ;   in Loop: Header=BB2_5 Depth=1
	s_and_not1_saveexec_b32 s0, s2
	s_cbranch_execz .LBB2_3
; %bb.13:                               ;   in Loop: Header=BB2_5 Depth=1
	v_mul_f64_e32 v[20:21], 0xbff80000, v[22:23]
	s_delay_alu instid0(VALU_DEP_1) | instskip(NEXT) | instid1(VALU_DEP_1)
	v_mul_f64_e32 v[20:21], v[22:23], v[20:21]
	v_fmac_f64_e32 v[20:21], 2.0, v[22:23]
	s_branch .LBB2_3
.LBB2_14:
	s_wait_loadcnt 0x0
	s_clause 0x1
	global_store_b128 v[8:9], v[0:3], off offset:88
	global_store_b64 v[8:9], v[10:11], off offset:104
.LBB2_15:
	s_endpgm
	.section	.rodata,"a",@progbits
	.p2align	6, 0x0
	.amdhsa_kernel _Z21updateAccelerationsBPP14fluid_particlePK17boundary_particlePK5param
		.amdhsa_group_segment_fixed_size 0
		.amdhsa_private_segment_fixed_size 0
		.amdhsa_kernarg_size 280
		.amdhsa_user_sgpr_count 2
		.amdhsa_user_sgpr_dispatch_ptr 0
		.amdhsa_user_sgpr_queue_ptr 0
		.amdhsa_user_sgpr_kernarg_segment_ptr 1
		.amdhsa_user_sgpr_dispatch_id 0
		.amdhsa_user_sgpr_kernarg_preload_length 0
		.amdhsa_user_sgpr_kernarg_preload_offset 0
		.amdhsa_user_sgpr_private_segment_size 0
		.amdhsa_wavefront_size32 1
		.amdhsa_uses_dynamic_stack 0
		.amdhsa_enable_private_segment 0
		.amdhsa_system_sgpr_workgroup_id_x 1
		.amdhsa_system_sgpr_workgroup_id_y 0
		.amdhsa_system_sgpr_workgroup_id_z 0
		.amdhsa_system_sgpr_workgroup_info 0
		.amdhsa_system_vgpr_workitem_id 0
		.amdhsa_next_free_vgpr 32
		.amdhsa_next_free_sgpr 24
		.amdhsa_named_barrier_count 0
		.amdhsa_reserve_vcc 1
		.amdhsa_float_round_mode_32 0
		.amdhsa_float_round_mode_16_64 0
		.amdhsa_float_denorm_mode_32 3
		.amdhsa_float_denorm_mode_16_64 3
		.amdhsa_fp16_overflow 0
		.amdhsa_memory_ordered 1
		.amdhsa_forward_progress 1
		.amdhsa_inst_pref_size 11
		.amdhsa_round_robin_scheduling 0
		.amdhsa_exception_fp_ieee_invalid_op 0
		.amdhsa_exception_fp_denorm_src 0
		.amdhsa_exception_fp_ieee_div_zero 0
		.amdhsa_exception_fp_ieee_overflow 0
		.amdhsa_exception_fp_ieee_underflow 0
		.amdhsa_exception_fp_ieee_inexact 0
		.amdhsa_exception_int_div_zero 0
	.end_amdhsa_kernel
	.text
.Lfunc_end2:
	.size	_Z21updateAccelerationsBPP14fluid_particlePK17boundary_particlePK5param, .Lfunc_end2-_Z21updateAccelerationsBPP14fluid_particlePK17boundary_particlePK5param
                                        ; -- End function
	.set _Z21updateAccelerationsBPP14fluid_particlePK17boundary_particlePK5param.num_vgpr, 32
	.set _Z21updateAccelerationsBPP14fluid_particlePK17boundary_particlePK5param.num_agpr, 0
	.set _Z21updateAccelerationsBPP14fluid_particlePK17boundary_particlePK5param.numbered_sgpr, 24
	.set _Z21updateAccelerationsBPP14fluid_particlePK17boundary_particlePK5param.num_named_barrier, 0
	.set _Z21updateAccelerationsBPP14fluid_particlePK17boundary_particlePK5param.private_seg_size, 0
	.set _Z21updateAccelerationsBPP14fluid_particlePK17boundary_particlePK5param.uses_vcc, 1
	.set _Z21updateAccelerationsBPP14fluid_particlePK17boundary_particlePK5param.uses_flat_scratch, 0
	.set _Z21updateAccelerationsBPP14fluid_particlePK17boundary_particlePK5param.has_dyn_sized_stack, 0
	.set _Z21updateAccelerationsBPP14fluid_particlePK17boundary_particlePK5param.has_recursion, 0
	.set _Z21updateAccelerationsBPP14fluid_particlePK17boundary_particlePK5param.has_indirect_call, 0
	.section	.AMDGPU.csdata,"",@progbits
; Kernel info:
; codeLenInByte = 1296
; TotalNumSgprs: 26
; NumVgprs: 32
; ScratchSize: 0
; MemoryBound: 1
; FloatMode: 240
; IeeeMode: 1
; LDSByteSize: 0 bytes/workgroup (compile time only)
; SGPRBlocks: 0
; VGPRBlocks: 1
; NumSGPRsForWavesPerEU: 26
; NumVGPRsForWavesPerEU: 32
; NamedBarCnt: 0
; Occupancy: 16
; WaveLimiterHint : 0
; COMPUTE_PGM_RSRC2:SCRATCH_EN: 0
; COMPUTE_PGM_RSRC2:USER_SGPR: 2
; COMPUTE_PGM_RSRC2:TRAP_HANDLER: 0
; COMPUTE_PGM_RSRC2:TGID_X_EN: 1
; COMPUTE_PGM_RSRC2:TGID_Y_EN: 0
; COMPUTE_PGM_RSRC2:TGID_Z_EN: 0
; COMPUTE_PGM_RSRC2:TIDIG_COMP_CNT: 0
	.text
	.protected	_Z15updatePositionsP14fluid_particlePK5param ; -- Begin function _Z15updatePositionsP14fluid_particlePK5param
	.globl	_Z15updatePositionsP14fluid_particlePK5param
	.p2align	8
	.type	_Z15updatePositionsP14fluid_particlePK5param,@function
_Z15updatePositionsP14fluid_particlePK5param: ; @_Z15updatePositionsP14fluid_particlePK5param
; %bb.0:
	s_clause 0x1
	s_load_b64 s[2:3], s[0:1], 0x8
	s_load_b32 s4, s[0:1], 0x1c
	s_bfe_u32 s5, ttmp6, 0x4000c
	s_and_b32 s7, ttmp6, 15
	s_add_co_i32 s5, s5, 1
	s_getreg_b32 s8, hwreg(HW_REG_IB_STS2, 6, 4)
	s_mul_i32 s5, ttmp9, s5
	s_delay_alu instid0(SALU_CYCLE_1)
	s_add_co_i32 s7, s7, s5
	s_wait_kmcnt 0x0
	s_load_b32 s6, s[2:3], 0x4c
	s_and_b32 s4, s4, 0xffff
	s_cmp_eq_u32 s8, 0
	s_cselect_b32 s5, ttmp9, s7
	s_delay_alu instid0(SALU_CYCLE_1) | instskip(SKIP_2) | instid1(VALU_DEP_1)
	v_mad_u32 v0, s5, s4, v0
	s_mov_b32 s4, exec_lo
	s_wait_kmcnt 0x0
	v_cmpx_gt_i32_e64 s6, v0
	s_cbranch_execz .LBB3_2
; %bb.1:
	s_load_b64 s[0:1], s[0:1], 0x0
	s_wait_kmcnt 0x0
	v_mad_nc_i64_i32 v[20:21], 0x70, v0, s[0:1]
	s_clause 0x4
	global_load_b128 v[0:3], v[20:21], off offset:80
	global_load_b128 v[4:7], v[20:21], off offset:64
	;; [unrolled: 1-line block ×4, first 2 shown]
	global_load_b64 v[16:17], v[20:21], off offset:32
	s_load_b64 s[0:1], s[2:3], 0x28
	s_wait_kmcnt 0x0
	v_mul_f64_e64 v[22:23], s[0:1], 0.5
	s_wait_loadcnt 0x3
	v_fmac_f64_e32 v[4:5], s[0:1], v[2:3]
	s_wait_loadcnt 0x2
	v_fmac_f64_e32 v[6:7], s[0:1], v[8:9]
	v_fmac_f64_e32 v[0:1], s[0:1], v[10:11]
	s_wait_loadcnt 0x1
	s_delay_alu instid0(VALU_DEP_3) | instskip(NEXT) | instid1(VALU_DEP_3)
	v_fmac_f64_e32 v[12:13], s[0:1], v[4:5]
	v_fma_f64 v[8:9], v[22:23], v[8:9], v[6:7]
	s_delay_alu instid0(VALU_DEP_3)
	v_fma_f64 v[10:11], v[22:23], v[10:11], v[0:1]
	v_fmac_f64_e32 v[14:15], s[0:1], v[6:7]
	v_fma_f64 v[18:19], v[22:23], v[2:3], v[4:5]
	s_wait_loadcnt 0x0
	v_fmac_f64_e32 v[16:17], s[0:1], v[0:1]
	s_clause 0x4
	global_store_b64 v[20:21], v[0:1], off offset:80
	global_store_b128 v[20:21], v[4:7], off offset:64
	global_store_b128 v[20:21], v[8:11], off offset:48
	global_store_b128 v[20:21], v[12:15], off offset:16
	global_store_b128 v[20:21], v[16:19], off offset:32
.LBB3_2:
	s_endpgm
	.section	.rodata,"a",@progbits
	.p2align	6, 0x0
	.amdhsa_kernel _Z15updatePositionsP14fluid_particlePK5param
		.amdhsa_group_segment_fixed_size 0
		.amdhsa_private_segment_fixed_size 0
		.amdhsa_kernarg_size 272
		.amdhsa_user_sgpr_count 2
		.amdhsa_user_sgpr_dispatch_ptr 0
		.amdhsa_user_sgpr_queue_ptr 0
		.amdhsa_user_sgpr_kernarg_segment_ptr 1
		.amdhsa_user_sgpr_dispatch_id 0
		.amdhsa_user_sgpr_kernarg_preload_length 0
		.amdhsa_user_sgpr_kernarg_preload_offset 0
		.amdhsa_user_sgpr_private_segment_size 0
		.amdhsa_wavefront_size32 1
		.amdhsa_uses_dynamic_stack 0
		.amdhsa_enable_private_segment 0
		.amdhsa_system_sgpr_workgroup_id_x 1
		.amdhsa_system_sgpr_workgroup_id_y 0
		.amdhsa_system_sgpr_workgroup_id_z 0
		.amdhsa_system_sgpr_workgroup_info 0
		.amdhsa_system_vgpr_workitem_id 0
		.amdhsa_next_free_vgpr 24
		.amdhsa_next_free_sgpr 9
		.amdhsa_named_barrier_count 0
		.amdhsa_reserve_vcc 0
		.amdhsa_float_round_mode_32 0
		.amdhsa_float_round_mode_16_64 0
		.amdhsa_float_denorm_mode_32 3
		.amdhsa_float_denorm_mode_16_64 3
		.amdhsa_fp16_overflow 0
		.amdhsa_memory_ordered 1
		.amdhsa_forward_progress 1
		.amdhsa_inst_pref_size 3
		.amdhsa_round_robin_scheduling 0
		.amdhsa_exception_fp_ieee_invalid_op 0
		.amdhsa_exception_fp_denorm_src 0
		.amdhsa_exception_fp_ieee_div_zero 0
		.amdhsa_exception_fp_ieee_overflow 0
		.amdhsa_exception_fp_ieee_underflow 0
		.amdhsa_exception_fp_ieee_inexact 0
		.amdhsa_exception_int_div_zero 0
	.end_amdhsa_kernel
	.text
.Lfunc_end3:
	.size	_Z15updatePositionsP14fluid_particlePK5param, .Lfunc_end3-_Z15updatePositionsP14fluid_particlePK5param
                                        ; -- End function
	.set _Z15updatePositionsP14fluid_particlePK5param.num_vgpr, 24
	.set _Z15updatePositionsP14fluid_particlePK5param.num_agpr, 0
	.set _Z15updatePositionsP14fluid_particlePK5param.numbered_sgpr, 9
	.set _Z15updatePositionsP14fluid_particlePK5param.num_named_barrier, 0
	.set _Z15updatePositionsP14fluid_particlePK5param.private_seg_size, 0
	.set _Z15updatePositionsP14fluid_particlePK5param.uses_vcc, 0
	.set _Z15updatePositionsP14fluid_particlePK5param.uses_flat_scratch, 0
	.set _Z15updatePositionsP14fluid_particlePK5param.has_dyn_sized_stack, 0
	.set _Z15updatePositionsP14fluid_particlePK5param.has_recursion, 0
	.set _Z15updatePositionsP14fluid_particlePK5param.has_indirect_call, 0
	.section	.AMDGPU.csdata,"",@progbits
; Kernel info:
; codeLenInByte = 360
; TotalNumSgprs: 9
; NumVgprs: 24
; ScratchSize: 0
; MemoryBound: 0
; FloatMode: 240
; IeeeMode: 1
; LDSByteSize: 0 bytes/workgroup (compile time only)
; SGPRBlocks: 0
; VGPRBlocks: 1
; NumSGPRsForWavesPerEU: 9
; NumVGPRsForWavesPerEU: 24
; NamedBarCnt: 0
; Occupancy: 16
; WaveLimiterHint : 0
; COMPUTE_PGM_RSRC2:SCRATCH_EN: 0
; COMPUTE_PGM_RSRC2:USER_SGPR: 2
; COMPUTE_PGM_RSRC2:TRAP_HANDLER: 0
; COMPUTE_PGM_RSRC2:TGID_X_EN: 1
; COMPUTE_PGM_RSRC2:TGID_Y_EN: 0
; COMPUTE_PGM_RSRC2:TGID_Z_EN: 0
; COMPUTE_PGM_RSRC2:TIDIG_COMP_CNT: 0
	.text
	.p2alignl 7, 3214868480
	.fill 96, 4, 3214868480
	.section	.AMDGPU.gpr_maximums,"",@progbits
	.set amdgpu.max_num_vgpr, 0
	.set amdgpu.max_num_agpr, 0
	.set amdgpu.max_num_sgpr, 0
	.text
	.type	__hip_cuid_8a179228536e66b4,@object ; @__hip_cuid_8a179228536e66b4
	.section	.bss,"aw",@nobits
	.globl	__hip_cuid_8a179228536e66b4
__hip_cuid_8a179228536e66b4:
	.byte	0                               ; 0x0
	.size	__hip_cuid_8a179228536e66b4, 1

	.ident	"AMD clang version 22.0.0git (https://github.com/RadeonOpenCompute/llvm-project roc-7.2.4 26084 f58b06dce1f9c15707c5f808fd002e18c2accf7e)"
	.section	".note.GNU-stack","",@progbits
	.addrsig
	.addrsig_sym __hip_cuid_8a179228536e66b4
	.amdgpu_metadata
---
amdhsa.kernels:
  - .args:
      - .address_space:  global
        .offset:         0
        .size:           8
        .value_kind:     global_buffer
      - .actual_access:  read_only
        .address_space:  global
        .offset:         8
        .size:           8
        .value_kind:     global_buffer
      - .offset:         16
        .size:           4
        .value_kind:     hidden_block_count_x
      - .offset:         20
        .size:           4
        .value_kind:     hidden_block_count_y
      - .offset:         24
        .size:           4
        .value_kind:     hidden_block_count_z
      - .offset:         28
        .size:           2
        .value_kind:     hidden_group_size_x
      - .offset:         30
        .size:           2
        .value_kind:     hidden_group_size_y
      - .offset:         32
        .size:           2
        .value_kind:     hidden_group_size_z
      - .offset:         34
        .size:           2
        .value_kind:     hidden_remainder_x
      - .offset:         36
        .size:           2
        .value_kind:     hidden_remainder_y
      - .offset:         38
        .size:           2
        .value_kind:     hidden_remainder_z
      - .offset:         56
        .size:           8
        .value_kind:     hidden_global_offset_x
      - .offset:         64
        .size:           8
        .value_kind:     hidden_global_offset_y
      - .offset:         72
        .size:           8
        .value_kind:     hidden_global_offset_z
      - .offset:         80
        .size:           2
        .value_kind:     hidden_grid_dims
    .group_segment_fixed_size: 0
    .kernarg_segment_align: 8
    .kernarg_segment_size: 272
    .language:       OpenCL C
    .language_version:
      - 2
      - 0
    .max_flat_workgroup_size: 1024
    .name:           _Z15updatePressuresP14fluid_particlePK5param
    .private_segment_fixed_size: 0
    .sgpr_count:     31
    .sgpr_spill_count: 0
    .symbol:         _Z15updatePressuresP14fluid_particlePK5param.kd
    .uniform_work_group_size: 1
    .uses_dynamic_stack: false
    .vgpr_count:     58
    .vgpr_spill_count: 0
    .wavefront_size: 32
  - .args:
      - .address_space:  global
        .offset:         0
        .size:           8
        .value_kind:     global_buffer
      - .actual_access:  read_only
        .address_space:  global
        .offset:         8
        .size:           8
        .value_kind:     global_buffer
      - .offset:         16
        .size:           4
        .value_kind:     hidden_block_count_x
      - .offset:         20
        .size:           4
        .value_kind:     hidden_block_count_y
      - .offset:         24
        .size:           4
        .value_kind:     hidden_block_count_z
      - .offset:         28
        .size:           2
        .value_kind:     hidden_group_size_x
      - .offset:         30
        .size:           2
        .value_kind:     hidden_group_size_y
      - .offset:         32
        .size:           2
        .value_kind:     hidden_group_size_z
      - .offset:         34
        .size:           2
        .value_kind:     hidden_remainder_x
      - .offset:         36
        .size:           2
        .value_kind:     hidden_remainder_y
      - .offset:         38
        .size:           2
        .value_kind:     hidden_remainder_z
      - .offset:         56
        .size:           8
        .value_kind:     hidden_global_offset_x
      - .offset:         64
        .size:           8
        .value_kind:     hidden_global_offset_y
      - .offset:         72
        .size:           8
        .value_kind:     hidden_global_offset_z
      - .offset:         80
        .size:           2
        .value_kind:     hidden_grid_dims
    .group_segment_fixed_size: 0
    .kernarg_segment_align: 8
    .kernarg_segment_size: 272
    .language:       OpenCL C
    .language_version:
      - 2
      - 0
    .max_flat_workgroup_size: 1024
    .name:           _Z21updateAccelerationsFPP14fluid_particlePK5param
    .private_segment_fixed_size: 0
    .sgpr_count:     46
    .sgpr_spill_count: 0
    .symbol:         _Z21updateAccelerationsFPP14fluid_particlePK5param.kd
    .uniform_work_group_size: 1
    .uses_dynamic_stack: false
    .vgpr_count:     76
    .vgpr_spill_count: 0
    .wavefront_size: 32
  - .args:
      - .address_space:  global
        .offset:         0
        .size:           8
        .value_kind:     global_buffer
      - .actual_access:  read_only
        .address_space:  global
        .offset:         8
        .size:           8
        .value_kind:     global_buffer
      - .actual_access:  read_only
        .address_space:  global
        .offset:         16
        .size:           8
        .value_kind:     global_buffer
      - .offset:         24
        .size:           4
        .value_kind:     hidden_block_count_x
      - .offset:         28
        .size:           4
        .value_kind:     hidden_block_count_y
      - .offset:         32
        .size:           4
        .value_kind:     hidden_block_count_z
      - .offset:         36
        .size:           2
        .value_kind:     hidden_group_size_x
      - .offset:         38
        .size:           2
        .value_kind:     hidden_group_size_y
      - .offset:         40
        .size:           2
        .value_kind:     hidden_group_size_z
      - .offset:         42
        .size:           2
        .value_kind:     hidden_remainder_x
      - .offset:         44
        .size:           2
        .value_kind:     hidden_remainder_y
      - .offset:         46
        .size:           2
        .value_kind:     hidden_remainder_z
      - .offset:         64
        .size:           8
        .value_kind:     hidden_global_offset_x
      - .offset:         72
        .size:           8
        .value_kind:     hidden_global_offset_y
      - .offset:         80
        .size:           8
        .value_kind:     hidden_global_offset_z
      - .offset:         88
        .size:           2
        .value_kind:     hidden_grid_dims
    .group_segment_fixed_size: 0
    .kernarg_segment_align: 8
    .kernarg_segment_size: 280
    .language:       OpenCL C
    .language_version:
      - 2
      - 0
    .max_flat_workgroup_size: 1024
    .name:           _Z21updateAccelerationsBPP14fluid_particlePK17boundary_particlePK5param
    .private_segment_fixed_size: 0
    .sgpr_count:     26
    .sgpr_spill_count: 0
    .symbol:         _Z21updateAccelerationsBPP14fluid_particlePK17boundary_particlePK5param.kd
    .uniform_work_group_size: 1
    .uses_dynamic_stack: false
    .vgpr_count:     32
    .vgpr_spill_count: 0
    .wavefront_size: 32
  - .args:
      - .address_space:  global
        .offset:         0
        .size:           8
        .value_kind:     global_buffer
      - .actual_access:  read_only
        .address_space:  global
        .offset:         8
        .size:           8
        .value_kind:     global_buffer
      - .offset:         16
        .size:           4
        .value_kind:     hidden_block_count_x
      - .offset:         20
        .size:           4
        .value_kind:     hidden_block_count_y
      - .offset:         24
        .size:           4
        .value_kind:     hidden_block_count_z
      - .offset:         28
        .size:           2
        .value_kind:     hidden_group_size_x
      - .offset:         30
        .size:           2
        .value_kind:     hidden_group_size_y
      - .offset:         32
        .size:           2
        .value_kind:     hidden_group_size_z
      - .offset:         34
        .size:           2
        .value_kind:     hidden_remainder_x
      - .offset:         36
        .size:           2
        .value_kind:     hidden_remainder_y
      - .offset:         38
        .size:           2
        .value_kind:     hidden_remainder_z
      - .offset:         56
        .size:           8
        .value_kind:     hidden_global_offset_x
      - .offset:         64
        .size:           8
        .value_kind:     hidden_global_offset_y
      - .offset:         72
        .size:           8
        .value_kind:     hidden_global_offset_z
      - .offset:         80
        .size:           2
        .value_kind:     hidden_grid_dims
    .group_segment_fixed_size: 0
    .kernarg_segment_align: 8
    .kernarg_segment_size: 272
    .language:       OpenCL C
    .language_version:
      - 2
      - 0
    .max_flat_workgroup_size: 1024
    .name:           _Z15updatePositionsP14fluid_particlePK5param
    .private_segment_fixed_size: 0
    .sgpr_count:     9
    .sgpr_spill_count: 0
    .symbol:         _Z15updatePositionsP14fluid_particlePK5param.kd
    .uniform_work_group_size: 1
    .uses_dynamic_stack: false
    .vgpr_count:     24
    .vgpr_spill_count: 0
    .wavefront_size: 32
amdhsa.target:   amdgcn-amd-amdhsa--gfx1250
amdhsa.version:
  - 1
  - 2
...

	.end_amdgpu_metadata
